;; amdgpu-corpus repo=zjin-lcf/HeCBench kind=compiled arch=gfx1250 opt=O3
	.amdgcn_target "amdgcn-amd-amdhsa--gfx1250"
	.amdhsa_code_object_version 6
	.text
	.protected	_Z2hwi13params_commonPKfPiS2_S2_S2_S2_S2_S2_S2_PfS3_S3_S3_S3_S3_S3_S3_S3_S3_S3_S3_S3_S3_S3_S3_S3_S3_S3_S3_S3_S3_ ; -- Begin function _Z2hwi13params_commonPKfPiS2_S2_S2_S2_S2_S2_S2_PfS3_S3_S3_S3_S3_S3_S3_S3_S3_S3_S3_S3_S3_S3_S3_S3_S3_S3_S3_S3_S3_
	.globl	_Z2hwi13params_commonPKfPiS2_S2_S2_S2_S2_S2_S2_PfS3_S3_S3_S3_S3_S3_S3_S3_S3_S3_S3_S3_S3_S3_S3_S3_S3_S3_S3_S3_S3_
	.p2align	8
	.type	_Z2hwi13params_commonPKfPiS2_S2_S2_S2_S2_S2_S2_PfS3_S3_S3_S3_S3_S3_S3_S3_S3_S3_S3_S3_S3_S3_S3_S3_S3_S3_S3_S3_S3_,@function
_Z2hwi13params_commonPKfPiS2_S2_S2_S2_S2_S2_S2_PfS3_S3_S3_S3_S3_S3_S3_S3_S3_S3_S3_S3_S3_S3_S3_S3_S3_S3_S3_S3_S3_: ; @_Z2hwi13params_commonPKfPiS2_S2_S2_S2_S2_S2_S2_PfS3_S3_S3_S3_S3_S3_S3_S3_S3_S3_S3_S3_S3_S3_S3_S3_S3_S3_S3_S3_S3_
; %bb.0:
	s_clause 0x1
	s_load_b32 s2, s[0:1], 0x38
	s_load_b96 s[56:58], s[0:1], 0x4c
	s_bfe_u32 s20, ttmp6, 0x4000c
	s_clause 0x1
	s_load_b256 s[12:19], s[0:1], 0x188
	s_load_b256 s[4:11], s[0:1], 0x1a8
	s_add_co_i32 s20, s20, 1
	s_and_b32 s3, ttmp6, 15
	s_mul_i32 s25, ttmp9, s20
	s_getreg_b32 s24, hwreg(HW_REG_IB_STS2, 6, 4)
	s_load_b128 s[20:23], s[0:1], 0x1c8
	s_add_co_i32 s3, s3, s25
	s_cmp_eq_u32 s24, 0
	s_clause 0x2
	s_load_b64 s[24:25], s[0:1], 0x1d8
	s_load_b32 s33, s[0:1], 0x0
	s_load_b96 s[60:62], s[0:1], 0x20
	s_cselect_b32 s98, ttmp9, s3
	s_wait_kmcnt 0x0
	s_cmp_lt_i32 s98, s2
	s_cselect_b32 s3, -1, 0
	s_delay_alu instid0(SALU_CYCLE_1)
	s_and_b32 s26, s3, exec_lo
	s_cselect_b32 s26, 0, s2
	s_mov_b32 s2, 0
	s_sub_co_i32 s84, s98, s26
	s_and_b32 s26, s3, exec_lo
	s_cselect_b32 s34, s14, s6
	s_mul_i32 s6, s84, s58
	s_cselect_b32 s35, s15, s7
	s_cselect_b32 s87, s17, s9
	;; [unrolled: 1-line block ×7, first 2 shown]
	s_ashr_i32 s7, s6, 31
	s_and_b32 s3, s3, exec_lo
	s_cselect_b32 s5, s23, s25
	s_cselect_b32 s4, s22, s24
	s_lshl_b64 s[6:7], s[6:7], 2
	s_cmp_lg_u32 s33, 0
	s_add_nc_u64 s[14:15], s[4:5], s[6:7]
	s_cbranch_scc0 .LBB0_266
; %bb.1:
	s_or_b64 s[6:7], s[0:1], 4
                                        ; implicit-def: $vgpr34 : SGPR spill to VGPR lane
	s_ashr_i32 s85, s84, 31
	s_load_b96 s[8:10], s[6:7], 0x5c
	s_load_b64 s[2:3], s[0:1], 0x1e0
	s_clause 0x2
	s_load_b64 s[4:5], s[6:7], 0x10
	s_load_b96 s[76:78], s[6:7], 0x8c
	s_load_b128 s[52:55], s[6:7], 0x7c
	s_lshl_b64 s[16:17], s[84:85], 2
	s_mov_b32 s11, exec_lo
	s_add_nc_u64 s[18:19], s[34:35], s[16:17]
	s_wait_kmcnt 0x0
	v_writelane_b32 v34, s4, 0
	v_writelane_b32 v34, s5, 1
	s_mul_i32 s4, s10, s98
	s_delay_alu instid0(SALU_CYCLE_1) | instskip(NEXT) | instid1(SALU_CYCLE_1)
	s_ashr_i32 s5, s4, 31
	s_lshl_b64 s[4:5], s[4:5], 2
	v_writelane_b32 v34, s18, 2
	s_add_nc_u64 s[96:97], s[2:3], s[4:5]
	s_add_nc_u64 s[2:3], s[86:87], s[16:17]
	v_writelane_b32 v34, s19, 3
	v_writelane_b32 v34, s2, 4
	v_writelane_b32 v34, s3, 5
	v_cmpx_gt_i32_e64 s10, v0
	s_cbranch_execz .LBB0_9
; %bb.2:
	s_delay_alu instid0(VALU_DEP_2)
	v_readlane_b32 s2, v34, 2
	v_readlane_b32 s4, v34, 4
	;; [unrolled: 1-line block ×4, first 2 shown]
	v_xad_u32 v1, v0, -1, s10
	v_mov_b32_e32 v2, v0
	s_load_b32 s2, s[2:3], 0x0
	s_wait_xcnt 0x0
	s_load_b32 s3, s[4:5], 0x0
	s_wait_xcnt 0x0
	s_load_b64 s[4:5], s[6:7], 0x10
	s_wait_kmcnt 0x0
	s_mov_b64 s[16:17], s[4:5]
	s_delay_alu instid0(SALU_CYCLE_1)
	s_not_b32 s4, s16
	s_sub_co_i32 s2, s2, s16
	s_add_co_i32 s16, s3, s4
	s_add_co_i32 s17, s2, -2
	s_mov_b32 s2, -1
	s_mov_b32 s3, exec_lo
	v_cmpx_lt_u32_e32 0xff, v1
	s_cbranch_execz .LBB0_6
; %bb.3:
	s_abs_i32 s18, s8
	v_dual_lshrrev_b32 v1, 8, v1 :: v_dual_mov_b32 v3, 0
	s_cvt_f32_u32 s2, s18
	s_sub_co_i32 s4, 0, s18
	s_mov_b32 s5, 0
	s_delay_alu instid0(VALU_DEP_1)
	v_add_nc_u32_e32 v6, 1, v1
	v_rcp_iflag_f32_e32 v2, s2
	v_add_nc_u32_e32 v1, 0x100, v0
	s_mov_b32 s19, s16
	s_mov_b32 s20, s17
	v_and_b32_e32 v7, 0x1fffffe, v6
	s_mov_b32 s21, s8
	v_mov_b64_e32 v[4:5], v[0:1]
	v_readfirstlane_b32 s2, v2
	s_mov_b32 s22, s8
	v_mov_b32_e32 v1, v7
	s_mov_b32 s23, s62
	s_mov_b32 s24, s62
	s_mul_f32 s2, s2, 0x4f7ffffe
	s_ashr_i32 s25, s8, 31
	s_mov_b32 s26, s5
	s_delay_alu instid0(SALU_CYCLE_1) | instskip(NEXT) | instid1(SALU_CYCLE_3)
	s_cvt_u32_f32 s2, s2
	s_mul_i32 s4, s4, s2
	s_delay_alu instid0(SALU_CYCLE_1) | instskip(NEXT) | instid1(SALU_CYCLE_1)
	s_mul_hi_u32 s4, s2, s4
	s_add_co_i32 s4, s2, s4
.LBB0_4:                                ; =>This Inner Loop Header: Depth=1
	v_add_nc_u32_e32 v12, 1, v4
	v_not_b32_e32 v2, v4
	v_not_b32_e32 v11, v5
	s_delay_alu instid0(VALU_DEP_2) | instskip(NEXT) | instid1(VALU_DEP_1)
	v_dual_add_nc_u32 v1, -2, v1 :: v_dual_max_i32 v2, v12, v2
	v_mul_u64_e32 v[8:9], s[4:5], v[2:3]
	v_add_nc_u32_e32 v8, 1, v5
	s_delay_alu instid0(VALU_DEP_2) | instskip(NEXT) | instid1(VALU_DEP_1)
	v_mul_lo_u32 v10, v9, s18
	v_dual_add_nc_u32 v15, 1, v9 :: v_dual_sub_nc_u32 v13, v2, v10
	s_delay_alu instid0(VALU_DEP_3) | instskip(NEXT) | instid1(VALU_DEP_2)
	v_max_i32_e32 v2, v8, v11
	v_subrev_nc_u32_e32 v16, s18, v13
	s_delay_alu instid0(VALU_DEP_2) | instskip(SKIP_3) | instid1(VALU_DEP_3)
	v_mul_u64_e32 v[10:11], s[4:5], v[2:3]
	v_ashrrev_i32_e32 v10, 31, v12
	v_ashrrev_i32_e32 v14, 31, v8
	v_cmp_le_u32_e32 vcc_lo, s18, v13
	v_xor_b32_e32 v10, s25, v10
	s_delay_alu instid0(VALU_DEP_3) | instskip(SKIP_1) | instid1(VALU_DEP_1)
	v_dual_cndmask_b32 v9, v9, v15, vcc_lo :: v_dual_bitop2_b32 v14, s25, v14 bitop3:0x14
	v_cndmask_b32_e32 v13, v13, v16, vcc_lo
	v_cmp_le_u32_e32 vcc_lo, s18, v13
	v_mul_lo_u32 v13, v11, s18
	s_delay_alu instid0(VALU_DEP_1) | instskip(SKIP_1) | instid1(VALU_DEP_2)
	v_sub_nc_u32_e32 v2, v2, v13
	v_add_nc_u32_e32 v15, 1, v9
	v_subrev_nc_u32_e32 v13, s18, v2
	s_delay_alu instid0(VALU_DEP_2) | instskip(SKIP_1) | instid1(VALU_DEP_2)
	v_cndmask_b32_e32 v9, v9, v15, vcc_lo
	v_cmp_le_u32_e32 vcc_lo, s18, v2
	v_dual_cndmask_b32 v2, v2, v13, vcc_lo :: v_dual_bitop2_b32 v9, v9, v10 bitop3:0x14
	s_delay_alu instid0(VALU_DEP_1) | instskip(NEXT) | instid1(VALU_DEP_1)
	v_dual_sub_nc_u32 v9, v9, v10 :: v_dual_add_nc_u32 v10, 1, v11
	v_cndmask_b32_e32 v10, v11, v10, vcc_lo
	s_delay_alu instid0(VALU_DEP_3) | instskip(NEXT) | instid1(VALU_DEP_2)
	v_cmp_le_u32_e32 vcc_lo, s18, v2
	v_add_nc_u32_e32 v11, 1, v10
	s_delay_alu instid0(VALU_DEP_1) | instskip(SKIP_1) | instid1(VALU_DEP_1)
	v_cndmask_b32_e32 v2, v10, v11, vcc_lo
	v_mul_lo_u32 v10, v9, s21
	v_dual_add_nc_u32 v9, s16, v9 :: v_dual_sub_nc_u32 v10, v12, v10
	s_delay_alu instid0(VALU_DEP_3) | instskip(NEXT) | instid1(VALU_DEP_2)
	v_xor_b32_e32 v2, v2, v14
	v_cmp_eq_u32_e32 vcc_lo, 0, v10
	s_delay_alu instid0(VALU_DEP_2) | instskip(SKIP_1) | instid1(VALU_DEP_2)
	v_sub_nc_u32_e32 v2, v2, v14
	v_cndmask_b32_e64 v10, v10, s21, vcc_lo
	v_mul_lo_u32 v11, v2, s22
	v_subrev_co_ci_u32_e64 v9, null, 0, v9, vcc_lo
	v_cmp_eq_u32_e32 vcc_lo, 0, v1
	s_delay_alu instid0(VALU_DEP_4) | instskip(SKIP_1) | instid1(VALU_DEP_1)
	v_add_nc_u32_e32 v10, s17, v10
	s_or_b32 s26, vcc_lo, s26
	v_mad_u32 v9, v9, s23, v10
	v_sub_nc_u32_e32 v8, v8, v11
	s_delay_alu instid0(VALU_DEP_1) | instskip(NEXT) | instid1(VALU_DEP_1)
	v_cmp_eq_u32_e64 s2, 0, v8
	v_cndmask_b32_e64 v8, v8, s22, s2
	s_delay_alu instid0(VALU_DEP_1) | instskip(NEXT) | instid1(VALU_DEP_1)
	v_dual_add_nc_u32 v8, s20, v8 :: v_dual_add_nc_u32 v2, s19, v2
	v_subrev_co_ci_u32_e64 v2, null, 0, v2, s2
	s_delay_alu instid0(VALU_DEP_1)
	v_mad_u32 v2, v2, s24, v8
	s_clause 0x1
	global_load_b32 v12, v9, s[12:13] scale_offset
	global_load_b32 v13, v2, s[12:13] scale_offset
	s_wait_xcnt 0x0
	v_mov_b32_e32 v2, v4
	v_add_nc_u32_e32 v4, 0x200, v4
	s_delay_alu instid0(VALU_DEP_2) | instskip(SKIP_1) | instid1(VALU_DEP_1)
	v_lshl_add_u64 v[8:9], v[2:3], 2, s[96:97]
	v_dual_mov_b32 v2, v5 :: v_dual_add_nc_u32 v5, 0x200, v5
	v_lshl_add_u64 v[10:11], v[2:3], 2, s[96:97]
	s_wait_loadcnt 0x1
	global_store_b32 v[8:9], v12, off
	s_wait_loadcnt 0x0
	global_store_b32 v[10:11], v13, off
	s_wait_xcnt 0x0
	s_and_not1_b32 exec_lo, exec_lo, s26
	s_cbranch_execnz .LBB0_4
; %bb.5:
	s_or_b32 exec_lo, exec_lo, s26
	v_cmp_ne_u32_e32 vcc_lo, v6, v7
	v_lshl_add_u32 v2, v7, 8, v0
	s_or_not1_b32 s2, vcc_lo, exec_lo
.LBB0_6:
	s_or_b32 exec_lo, exec_lo, s3
	s_delay_alu instid0(SALU_CYCLE_1)
	s_and_b32 exec_lo, exec_lo, s2
	s_cbranch_execz .LBB0_9
; %bb.7:
	s_abs_i32 s4, s8
	v_mov_b32_e32 v5, 0
	s_cvt_f32_u32 s2, s4
	s_sub_co_i32 s3, 0, s4
	s_ashr_i32 s5, s8, 31
	s_delay_alu instid0(VALU_DEP_1) | instskip(SKIP_1) | instid1(VALU_DEP_1)
	v_mov_b32_e32 v3, v5
	v_rcp_iflag_f32_e32 v1, s2
	v_lshl_add_u64 v[6:7], v[2:3], 2, s[96:97]
	s_delay_alu instid0(TRANS32_DEP_1) | instskip(SKIP_1) | instid1(SALU_CYCLE_3)
	v_readfirstlane_b32 s2, v1
	s_mul_f32 s2, s2, 0x4f7ffffe
	s_cvt_u32_f32 s2, s2
	s_delay_alu instid0(SALU_CYCLE_3) | instskip(NEXT) | instid1(SALU_CYCLE_1)
	s_mul_i32 s3, s3, s2
	s_mul_hi_u32 s18, s2, s3
	s_mov_b32 s3, 0
	s_add_co_i32 s2, s2, s18
	s_mov_b32 s18, s3
.LBB0_8:                                ; =>This Inner Loop Header: Depth=1
	v_add_nc_u32_e32 v1, 1, v2
	v_not_b32_e32 v3, v2
	v_add_nc_u32_e32 v2, 0x100, v2
	s_delay_alu instid0(VALU_DEP_2) | instskip(NEXT) | instid1(VALU_DEP_1)
	v_max_i32_e32 v4, v1, v3
	v_mul_u64_e32 v[8:9], s[2:3], v[4:5]
	s_delay_alu instid0(VALU_DEP_1) | instskip(NEXT) | instid1(VALU_DEP_1)
	v_mul_lo_u32 v3, v9, s4
	v_dual_add_nc_u32 v8, 1, v9 :: v_dual_sub_nc_u32 v3, v4, v3
	s_delay_alu instid0(VALU_DEP_1) | instskip(NEXT) | instid1(VALU_DEP_2)
	v_cmp_le_u32_e32 vcc_lo, s4, v3
	v_cndmask_b32_e32 v8, v9, v8, vcc_lo
	v_subrev_nc_u32_e32 v4, s4, v3
	s_delay_alu instid0(VALU_DEP_1) | instskip(NEXT) | instid1(VALU_DEP_1)
	v_dual_ashrrev_i32 v9, 31, v1 :: v_dual_cndmask_b32 v3, v3, v4, vcc_lo
	v_dual_add_nc_u32 v4, 1, v8 :: v_dual_bitop2_b32 v9, s5, v9 bitop3:0x14
	s_delay_alu instid0(VALU_DEP_2) | instskip(NEXT) | instid1(VALU_DEP_2)
	v_cmp_le_u32_e32 vcc_lo, s4, v3
	v_cndmask_b32_e32 v3, v8, v4, vcc_lo
	s_delay_alu instid0(VALU_DEP_1) | instskip(NEXT) | instid1(VALU_DEP_1)
	v_xor_b32_e32 v3, v3, v9
	v_sub_nc_u32_e32 v3, v3, v9
	s_delay_alu instid0(VALU_DEP_1) | instskip(NEXT) | instid1(VALU_DEP_1)
	v_mul_lo_u32 v4, v3, s8
	v_sub_nc_u32_e32 v1, v1, v4
	s_delay_alu instid0(VALU_DEP_1) | instskip(SKIP_1) | instid1(VALU_DEP_1)
	v_cmp_eq_u32_e32 vcc_lo, 0, v1
	v_cndmask_b32_e64 v1, v1, s8, vcc_lo
	v_dual_add_nc_u32 v3, s16, v3 :: v_dual_add_nc_u32 v1, s17, v1
	s_delay_alu instid0(VALU_DEP_1) | instskip(SKIP_1) | instid1(VALU_DEP_2)
	v_subrev_co_ci_u32_e64 v3, null, 0, v3, vcc_lo
	v_cmp_le_i32_e32 vcc_lo, s10, v2
	v_mad_u32 v1, v3, s62, v1
	s_or_b32 s18, vcc_lo, s18
	global_load_b32 v1, v1, s[12:13] scale_offset
	s_wait_loadcnt 0x0
	global_store_b32 v[6:7], v1, off
	s_wait_xcnt 0x0
	v_add_nc_u64_e32 v[6:7], 0x400, v[6:7]
	s_and_not1_b32 exec_lo, exec_lo, s18
	s_cbranch_execnz .LBB0_8
.LBB0_9:
	s_or_b32 exec_lo, exec_lo, s11
	s_clause 0x1
	s_load_b64 s[4:5], s[0:1], 0x240
	s_load_b64 s[16:17], s[0:1], 0x1e8
	s_load_b32 s59, s[6:7], 0x74
	v_cmp_gt_i32_e64 s3, s58, v0
	s_mul_i32 s10, s58, s98
	s_wait_storecnt 0x0
	s_ashr_i32 s11, s10, 31
	s_barrier_signal -1
	s_barrier_wait -1
	v_writelane_b32 v34, s3, 6
	s_and_saveexec_b32 s2, s3
	s_cbranch_execz .LBB0_17
; %bb.10:
	v_xad_u32 v1, v0, -1, s58
	v_mov_b32_e32 v2, v0
	s_mov_b32 s3, -1
	s_mov_b32 s22, exec_lo
	s_delay_alu instid0(VALU_DEP_2)
	v_cmpx_lt_u32_e32 0xff, v1
	s_cbranch_execz .LBB0_14
; %bb.11:
	s_abs_i32 s23, s56
	v_dual_lshrrev_b32 v1, 8, v1 :: v_dual_mov_b32 v3, 0
	s_cvt_f32_u32 s3, s23
	s_sub_co_i32 s18, 0, s23
	s_lshl_b64 s[20:21], s[10:11], 2
	s_delay_alu instid0(VALU_DEP_1)
	v_add_nc_u32_e32 v6, 1, v1
	v_rcp_iflag_f32_e32 v2, s3
	v_add_nc_u32_e32 v1, 0x100, v0
	s_mov_b32 s19, 0
	s_mov_b32 s24, s56
	v_and_b32_e32 v7, 0x1fffffe, v6
	s_mov_b32 s25, s56
	v_mov_b64_e32 v[4:5], v[0:1]
	v_readfirstlane_b32 s3, v2
	s_ashr_i32 s26, s56, 31
	v_mov_b32_e32 v1, v7
	s_wait_kmcnt 0x0
	s_add_nc_u64 s[20:21], s[4:5], s[20:21]
	s_mov_b32 s27, s19
	s_mul_f32 s3, s3, 0x4f7ffffe
	s_delay_alu instid0(SALU_CYCLE_3) | instskip(NEXT) | instid1(SALU_CYCLE_3)
	s_cvt_u32_f32 s3, s3
	s_mul_i32 s18, s18, s3
	s_delay_alu instid0(SALU_CYCLE_1) | instskip(NEXT) | instid1(SALU_CYCLE_1)
	s_mul_hi_u32 s18, s3, s18
	s_add_co_i32 s18, s3, s18
.LBB0_12:                               ; =>This Inner Loop Header: Depth=1
	v_add_nc_u32_e32 v12, 1, v4
	v_not_b32_e32 v2, v4
	v_not_b32_e32 v11, v5
	s_delay_alu instid0(VALU_DEP_2) | instskip(NEXT) | instid1(VALU_DEP_1)
	v_dual_add_nc_u32 v1, -2, v1 :: v_dual_max_i32 v2, v12, v2
	v_mul_u64_e32 v[8:9], s[18:19], v[2:3]
	v_add_nc_u32_e32 v8, 1, v5
	s_delay_alu instid0(VALU_DEP_2) | instskip(NEXT) | instid1(VALU_DEP_1)
	v_mul_lo_u32 v10, v9, s23
	v_dual_add_nc_u32 v15, 1, v9 :: v_dual_sub_nc_u32 v13, v2, v10
	s_delay_alu instid0(VALU_DEP_3) | instskip(NEXT) | instid1(VALU_DEP_2)
	v_max_i32_e32 v2, v8, v11
	v_subrev_nc_u32_e32 v16, s23, v13
	s_delay_alu instid0(VALU_DEP_2) | instskip(SKIP_3) | instid1(VALU_DEP_3)
	v_mul_u64_e32 v[10:11], s[18:19], v[2:3]
	v_ashrrev_i32_e32 v10, 31, v12
	v_ashrrev_i32_e32 v14, 31, v8
	v_cmp_le_u32_e32 vcc_lo, s23, v13
	v_xor_b32_e32 v10, s26, v10
	s_delay_alu instid0(VALU_DEP_3) | instskip(SKIP_1) | instid1(VALU_DEP_1)
	v_dual_cndmask_b32 v9, v9, v15, vcc_lo :: v_dual_bitop2_b32 v14, s26, v14 bitop3:0x14
	v_cndmask_b32_e32 v13, v13, v16, vcc_lo
	v_cmp_le_u32_e32 vcc_lo, s23, v13
	v_mul_lo_u32 v13, v11, s23
	s_delay_alu instid0(VALU_DEP_1) | instskip(SKIP_1) | instid1(VALU_DEP_2)
	v_dual_add_nc_u32 v16, 1, v11 :: v_dual_sub_nc_u32 v2, v2, v13
	v_add_nc_u32_e32 v15, 1, v9
	v_subrev_nc_u32_e32 v13, s23, v2
	s_delay_alu instid0(VALU_DEP_2) | instskip(SKIP_1) | instid1(VALU_DEP_2)
	v_cndmask_b32_e32 v9, v9, v15, vcc_lo
	v_cmp_le_u32_e32 vcc_lo, s23, v2
	v_dual_cndmask_b32 v11, v11, v16, vcc_lo :: v_dual_bitop2_b32 v9, v9, v10 bitop3:0x14
	s_delay_alu instid0(VALU_DEP_1) | instskip(NEXT) | instid1(VALU_DEP_2)
	v_dual_cndmask_b32 v2, v2, v13 :: v_dual_add_nc_u32 v13, 1, v11
	v_sub_nc_u32_e32 v15, v9, v10
	s_delay_alu instid0(VALU_DEP_2) | instskip(NEXT) | instid1(VALU_DEP_3)
	v_cmp_le_u32_e32 vcc_lo, s23, v2
	v_cndmask_b32_e32 v2, v11, v13, vcc_lo
	s_delay_alu instid0(VALU_DEP_3) | instskip(NEXT) | instid1(VALU_DEP_1)
	v_mul_lo_u32 v13, v15, s24
	v_dual_sub_nc_u32 v12, v12, v13 :: v_dual_bitop2_b32 v2, v2, v14 bitop3:0x14
	s_delay_alu instid0(VALU_DEP_1) | instskip(NEXT) | instid1(VALU_DEP_2)
	v_sub_nc_u32_e32 v11, v2, v14
	v_cmp_eq_u32_e32 vcc_lo, 0, v12
	v_sub_co_ci_u32_e64 v9, null, v9, v10, vcc_lo
	v_sub_nc_u32_e32 v10, s24, v12
	s_delay_alu instid0(VALU_DEP_4) | instskip(NEXT) | instid1(VALU_DEP_3)
	v_mul_lo_u32 v11, v11, s25
	v_xor_b32_e32 v9, -1, v9
	s_delay_alu instid0(VALU_DEP_3) | instskip(SKIP_2) | instid1(VALU_DEP_4)
	v_cndmask_b32_e64 v10, v10, 0, vcc_lo
	v_cmp_eq_u32_e32 vcc_lo, 0, v1
	s_or_b32 s27, vcc_lo, s27
	v_sub_nc_u32_e32 v8, v8, v11
	s_delay_alu instid0(VALU_DEP_1) | instskip(NEXT) | instid1(VALU_DEP_1)
	v_cmp_eq_u32_e64 s3, 0, v8
	v_sub_co_ci_u32_e64 v2, null, v2, v14, s3
	s_delay_alu instid0(VALU_DEP_1) | instskip(SKIP_1) | instid1(VALU_DEP_2)
	v_dual_sub_nc_u32 v8, s25, v8 :: v_dual_bitop2_b32 v2, -1, v2 bitop3:0x14
	v_add_nc_u32_e32 v9, s24, v9
	v_cndmask_b32_e64 v8, v8, 0, s3
	s_delay_alu instid0(VALU_DEP_3) | instskip(NEXT) | instid1(VALU_DEP_3)
	v_add_nc_u32_e32 v2, s25, v2
	v_mad_u32 v9, v9, s24, v10
	s_delay_alu instid0(VALU_DEP_2)
	v_mad_u32 v2, v2, s25, v8
	s_clause 0x1
	global_load_b32 v12, v9, s[14:15] scale_offset
	global_load_b32 v13, v2, s[14:15] scale_offset
	s_wait_xcnt 0x0
	v_mov_b32_e32 v2, v4
	v_add_nc_u32_e32 v4, 0x200, v4
	s_delay_alu instid0(VALU_DEP_2) | instskip(SKIP_1) | instid1(VALU_DEP_1)
	v_lshl_add_u64 v[8:9], v[2:3], 2, s[20:21]
	v_dual_mov_b32 v2, v5 :: v_dual_add_nc_u32 v5, 0x200, v5
	v_lshl_add_u64 v[10:11], v[2:3], 2, s[20:21]
	s_wait_loadcnt 0x1
	global_store_b32 v[8:9], v12, off
	s_wait_loadcnt 0x0
	global_store_b32 v[10:11], v13, off
	s_wait_xcnt 0x0
	s_and_not1_b32 exec_lo, exec_lo, s27
	s_cbranch_execnz .LBB0_12
; %bb.13:
	s_or_b32 exec_lo, exec_lo, s27
	v_cmp_ne_u32_e32 vcc_lo, v6, v7
	v_lshl_add_u32 v2, v7, 8, v0
	s_or_not1_b32 s3, vcc_lo, exec_lo
.LBB0_14:
	s_or_b32 exec_lo, exec_lo, s22
	s_delay_alu instid0(SALU_CYCLE_1)
	s_and_b32 exec_lo, exec_lo, s3
	s_cbranch_execz .LBB0_17
; %bb.15:
	s_abs_i32 s3, s56
	v_mov_b32_e32 v5, 0
	s_cvt_f32_u32 s18, s3
	s_sub_co_i32 s22, 0, s3
	s_ashr_i32 s20, s56, 31
	s_delay_alu instid0(VALU_DEP_1) | instskip(SKIP_2) | instid1(TRANS32_DEP_1)
	v_mov_b32_e32 v3, v5
	v_rcp_iflag_f32_e32 v1, s18
	v_nop
	v_readfirstlane_b32 s18, v1
	s_mul_f32 s18, s18, 0x4f7ffffe
	s_delay_alu instid0(SALU_CYCLE_3)
	s_cvt_u32_f32 s21, s18
	s_lshl_b64 s[18:19], s[10:11], 2
	s_wait_kmcnt 0x0
	s_add_nc_u64 s[18:19], s[4:5], s[18:19]
	s_mul_i32 s22, s22, s21
	v_lshl_add_u64 v[6:7], v[2:3], 2, s[18:19]
	s_mul_hi_u32 s18, s21, s22
	s_mov_b32 s19, 0
	s_add_co_i32 s18, s21, s18
	s_mov_b32 s21, s19
.LBB0_16:                               ; =>This Inner Loop Header: Depth=1
	v_add_nc_u32_e32 v1, 1, v2
	v_not_b32_e32 v3, v2
	v_add_nc_u32_e32 v2, 0x100, v2
	s_delay_alu instid0(VALU_DEP_2) | instskip(NEXT) | instid1(VALU_DEP_1)
	v_max_i32_e32 v4, v1, v3
	v_mul_u64_e32 v[8:9], s[18:19], v[4:5]
	v_ashrrev_i32_e32 v8, 31, v1
	s_delay_alu instid0(VALU_DEP_1) | instskip(NEXT) | instid1(VALU_DEP_3)
	v_xor_b32_e32 v8, s20, v8
	v_mul_lo_u32 v3, v9, s3
	s_delay_alu instid0(VALU_DEP_1) | instskip(NEXT) | instid1(VALU_DEP_1)
	v_dual_add_nc_u32 v10, 1, v9 :: v_dual_sub_nc_u32 v3, v4, v3
	v_subrev_nc_u32_e32 v4, s3, v3
	v_cmp_le_u32_e32 vcc_lo, s3, v3
	s_delay_alu instid0(VALU_DEP_2) | instskip(NEXT) | instid1(VALU_DEP_1)
	v_dual_cndmask_b32 v9, v9, v10, vcc_lo :: v_dual_cndmask_b32 v3, v3, v4, vcc_lo
	v_add_nc_u32_e32 v4, 1, v9
	s_delay_alu instid0(VALU_DEP_2) | instskip(NEXT) | instid1(VALU_DEP_2)
	v_cmp_le_u32_e32 vcc_lo, s3, v3
	v_cndmask_b32_e32 v3, v9, v4, vcc_lo
	s_delay_alu instid0(VALU_DEP_1) | instskip(NEXT) | instid1(VALU_DEP_1)
	v_xor_b32_e32 v3, v3, v8
	v_sub_nc_u32_e32 v4, v3, v8
	s_delay_alu instid0(VALU_DEP_1) | instskip(NEXT) | instid1(VALU_DEP_1)
	v_mul_lo_u32 v4, v4, s56
	v_sub_nc_u32_e32 v1, v1, v4
	s_delay_alu instid0(VALU_DEP_1) | instskip(SKIP_2) | instid1(VALU_DEP_2)
	v_cmp_eq_u32_e32 vcc_lo, 0, v1
	v_sub_nc_u32_e32 v4, s56, v1
	v_sub_co_ci_u32_e64 v1, null, v3, v8, vcc_lo
	v_cndmask_b32_e64 v3, v4, 0, vcc_lo
	v_cmp_le_i32_e32 vcc_lo, s58, v2
	s_delay_alu instid0(VALU_DEP_3) | instskip(SKIP_1) | instid1(VALU_DEP_1)
	v_xad_u32 v1, v1, -1, s56
	s_or_b32 s21, vcc_lo, s21
	v_mad_u32 v1, v1, s56, v3
	global_load_b32 v1, v1, s[14:15] scale_offset
	s_wait_loadcnt 0x0
	global_store_b32 v[6:7], v1, off
	s_wait_xcnt 0x0
	v_add_nc_u64_e32 v[6:7], 0x400, v[6:7]
	s_and_not1_b32 exec_lo, exec_lo, s21
	s_cbranch_execnz .LBB0_16
.LBB0_17:
	s_or_b32 exec_lo, exec_lo, s2
	s_clause 0x5
	s_load_b32 s2, s[6:7], 0x9c
	s_load_b32 s94, s[6:7], 0xcc
	;; [unrolled: 1-line block ×4, first 2 shown]
	s_load_b64 s[100:101], s[6:7], 0x15c
	s_load_b64 s[102:103], s[6:7], 0x17c
	s_wait_kmcnt 0x0
	s_mul_i32 s18, s59, s98
	v_cmp_gt_i32_e64 s3, s59, v0
	s_ashr_i32 s19, s18, 31
	s_wait_storecnt 0x0
	s_lshl_b64 s[18:19], s[18:19], 2
	s_barrier_signal -1
	s_add_nc_u64 s[92:93], s[16:17], s[18:19]
	s_barrier_wait -1
	v_writelane_b32 v34, s3, 7
	s_and_saveexec_b32 s18, s3
	s_cbranch_execz .LBB0_28
; %bb.18:
	s_load_b32 s19, s[6:7], 0x6c
	s_lshl_b64 s[10:11], s[10:11], 2
	v_mov_b32_e32 v3, 0
	s_add_nc_u64 s[4:5], s[4:5], s[10:11]
	s_mov_b32 s17, 0
	s_add_nc_u64 s[10:11], s[4:5], -4
	s_sub_co_i32 s21, 0, s8
	s_add_co_i32 s22, s9, s53
	s_sub_co_i32 s23, 1, s8
	s_sub_co_i32 s24, 0, s9
	s_mov_b32 s25, s17
	s_wait_kmcnt 0x0
	s_abs_i32 s20, s19
	s_ashr_i32 s5, s19, 31
	s_cvt_f32_u32 s3, s20
	s_sub_co_i32 s16, 0, s20
	s_delay_alu instid0(SALU_CYCLE_2) | instskip(SKIP_1) | instid1(TRANS32_DEP_1)
	v_rcp_iflag_f32_e32 v1, s3
	v_nop
	v_readfirstlane_b32 s3, v1
	v_mov_b32_e32 v1, v0
	s_mul_f32 s3, s3, 0x4f7ffffe
	s_delay_alu instid0(SALU_CYCLE_3) | instskip(NEXT) | instid1(SALU_CYCLE_3)
	s_cvt_u32_f32 s3, s3
	s_mul_i32 s16, s16, s3
	s_delay_alu instid0(SALU_CYCLE_1) | instskip(NEXT) | instid1(SALU_CYCLE_1)
	s_mul_hi_u32 s4, s3, s16
	s_add_co_i32 s16, s3, s4
	s_branch .LBB0_21
.LBB0_19:                               ;   in Loop: Header=BB0_21 Depth=1
	s_or_b32 exec_lo, exec_lo, s26
.LBB0_20:                               ;   in Loop: Header=BB0_21 Depth=1
	s_delay_alu instid0(SALU_CYCLE_1) | instskip(SKIP_3) | instid1(VALU_DEP_1)
	s_or_b32 exec_lo, exec_lo, s3
	global_store_b32 v1, v9, s[92:93] scale_offset
	s_wait_xcnt 0x0
	v_add_nc_u32_e32 v1, 0x100, v1
	v_cmp_le_i32_e32 vcc_lo, s59, v1
	s_or_b32 s25, vcc_lo, s25
	s_delay_alu instid0(SALU_CYCLE_1)
	s_and_not1_b32 exec_lo, exec_lo, s25
	s_cbranch_execz .LBB0_28
.LBB0_21:                               ; =>This Loop Header: Depth=1
                                        ;     Child Loop BB0_24 Depth 2
                                        ;       Child Loop BB0_26 Depth 3
	v_add_nc_u32_e32 v6, 1, v1
	v_not_b32_e32 v2, v1
	v_mov_b32_e32 v9, 0
	s_mov_b32 s3, exec_lo
	s_delay_alu instid0(VALU_DEP_2) | instskip(NEXT) | instid1(VALU_DEP_1)
	v_max_i32_e32 v2, v6, v2
	v_mul_u64_e32 v[4:5], s[16:17], v[2:3]
	s_delay_alu instid0(VALU_DEP_1) | instskip(NEXT) | instid1(VALU_DEP_1)
	v_mul_lo_u32 v4, v5, s20
	v_dual_sub_nc_u32 v2, v2, v4 :: v_dual_add_nc_u32 v4, 1, v5
	s_delay_alu instid0(VALU_DEP_1) | instskip(SKIP_1) | instid1(VALU_DEP_3)
	v_subrev_nc_u32_e32 v7, s20, v2
	v_cmp_le_u32_e32 vcc_lo, s20, v2
	v_dual_cndmask_b32 v5, v5, v4 :: v_dual_ashrrev_i32 v4, 31, v6
	s_delay_alu instid0(VALU_DEP_1) | instskip(NEXT) | instid1(VALU_DEP_1)
	v_dual_cndmask_b32 v2, v2, v7 :: v_dual_add_nc_u32 v7, 1, v5
	v_cmp_le_u32_e32 vcc_lo, s20, v2
	s_delay_alu instid0(VALU_DEP_2) | instskip(NEXT) | instid1(VALU_DEP_1)
	v_dual_cndmask_b32 v2, v5, v7, vcc_lo :: v_dual_bitop2_b32 v4, s5, v4 bitop3:0x14
	v_xor_b32_e32 v5, v2, v4
	s_delay_alu instid0(VALU_DEP_1) | instskip(NEXT) | instid1(VALU_DEP_1)
	v_sub_nc_u32_e32 v2, v5, v4
	v_mul_lo_u32 v7, v2, s19
	s_delay_alu instid0(VALU_DEP_1) | instskip(NEXT) | instid1(VALU_DEP_1)
	v_sub_nc_u32_e32 v7, v6, v7
	v_cmp_ne_u32_e32 vcc_lo, 0, v7
	v_add_co_ci_u32_e64 v6, null, s53, v2, vcc_lo
	s_delay_alu instid0(VALU_DEP_1) | instskip(SKIP_1) | instid1(VALU_DEP_2)
	v_subrev_nc_u32_e32 v2, s9, v6
	v_cmp_le_i32_e64 s4, s9, v6
	v_add_nc_u32_e32 v8, 1, v2
	s_delay_alu instid0(VALU_DEP_1) | instskip(NEXT) | instid1(VALU_DEP_1)
	v_dual_cndmask_b32 v8, 1, v8, s4 :: v_dual_min_i32 v2, s57, v6
	v_cmpx_le_i32_e64 v8, v2
	s_cbranch_execz .LBB0_20
; %bb.22:                               ;   in Loop: Header=BB0_21 Depth=1
	v_cndmask_b32_e64 v9, 0, 1, vcc_lo
	s_mov_b32 s26, 0
	s_delay_alu instid0(VALU_DEP_1) | instskip(NEXT) | instid1(VALU_DEP_1)
	v_add3_u32 v5, s22, v5, v9
	v_dual_cndmask_b32 v7, s19, v7 :: v_dual_sub_nc_u32 v4, v5, v4
	s_delay_alu instid0(VALU_DEP_1) | instskip(NEXT) | instid1(VALU_DEP_1)
	v_dual_add_nc_u32 v7, s52, v7 :: v_dual_max_i32 v6, s9, v6
	v_dual_sub_nc_u32 v4, v4, v6 :: v_dual_max_i32 v9, s8, v7
	v_subrev_nc_u32_e32 v5, s8, v7
	v_dual_add_nc_u32 v6, s24, v6 :: v_dual_min_i32 v10, s56, v7
	s_delay_alu instid0(VALU_DEP_3) | instskip(NEXT) | instid1(VALU_DEP_4)
	v_mad_u32 v12, s8, v4, v7
	v_add_nc_u32_e32 v4, s23, v9
	s_delay_alu instid0(VALU_DEP_4) | instskip(SKIP_2) | instid1(VALU_DEP_4)
	v_add_nc_u32_e32 v5, 1, v5
	v_cmp_le_i32_e32 vcc_lo, s8, v7
	v_add_nc_u32_e32 v11, s21, v9
	v_mad_u32 v4, s56, v6, v4
	s_delay_alu instid0(VALU_DEP_4) | instskip(SKIP_1) | instid1(VALU_DEP_2)
	v_cndmask_b32_e32 v5, 1, v5, vcc_lo
	v_dual_mov_b32 v9, 0 :: v_dual_sub_nc_u32 v12, v12, v9
	v_cmp_le_i32_e32 vcc_lo, v5, v10
	s_branch .LBB0_24
.LBB0_23:                               ;   in Loop: Header=BB0_24 Depth=2
	s_or_b32 exec_lo, exec_lo, s27
	v_add_nc_u32_e32 v5, 1, v8
	v_cmp_ge_i32_e64 s4, v8, v2
	v_subrev_nc_u32_e32 v12, s8, v12
	s_delay_alu instid0(VALU_DEP_3) | instskip(SKIP_1) | instid1(SALU_CYCLE_1)
	v_dual_add_nc_u32 v4, s56, v4 :: v_dual_mov_b32 v8, v5
	s_or_b32 s26, s4, s26
	s_and_not1_b32 exec_lo, exec_lo, s26
	s_cbranch_execz .LBB0_19
.LBB0_24:                               ;   Parent Loop BB0_21 Depth=1
                                        ; =>  This Loop Header: Depth=2
                                        ;       Child Loop BB0_26 Depth 3
	s_and_saveexec_b32 s27, vcc_lo
	s_cbranch_execz .LBB0_23
; %bb.25:                               ;   in Loop: Header=BB0_24 Depth=2
	s_delay_alu instid0(VALU_DEP_1) | instskip(SKIP_1) | instid1(VALU_DEP_1)
	v_dual_ashrrev_i32 v5, 31, v4 :: v_dual_mov_b32 v13, v12
	s_mov_b32 s28, 0
	v_lshl_add_u64 v[6:7], v[4:5], 2, s[10:11]
	v_mov_b32_e32 v5, v11
.LBB0_26:                               ;   Parent Loop BB0_21 Depth=1
                                        ;     Parent Loop BB0_24 Depth=2
                                        ; =>    This Inner Loop Header: Depth=3
	global_load_b32 v14, v[6:7], off
	global_load_b32 v15, v13, s[96:97] offset:-4 scale_offset
	v_add_nc_u32_e32 v5, 1, v5
	s_wait_xcnt 0x1
	v_add_nc_u64_e32 v[6:7], 4, v[6:7]
	s_wait_loadcnt 0x0
	s_wait_xcnt 0x0
	v_dual_add_nc_u32 v13, -1, v13 :: v_dual_fmac_f32 v9, v14, v15
	v_cmp_ge_i32_e64 s4, v5, v10
	s_or_b32 s28, s4, s28
	s_delay_alu instid0(SALU_CYCLE_1)
	s_and_not1_b32 exec_lo, exec_lo, s28
	s_cbranch_execnz .LBB0_26
; %bb.27:                               ;   in Loop: Header=BB0_24 Depth=2
	s_or_b32 exec_lo, exec_lo, s28
	s_branch .LBB0_23
.LBB0_28:
	s_or_b32 exec_lo, exec_lo, s18
	s_clause 0x1
	s_load_b64 s[4:5], s[0:1], 0x278
	s_load_b128 s[16:19], s[0:1], 0x268
	v_lshlrev_b32_e32 v2, 2, v0
	s_wait_kmcnt 0x0
	v_writelane_b32 v34, s4, 8
	v_writelane_b32 v34, s5, 9
	v_cmp_gt_i32_e64 s4, s78, v0
	v_writelane_b32 v34, s16, 10
	v_writelane_b32 v34, s17, 11
	;; [unrolled: 1-line block ×4, first 2 shown]
	s_clause 0x1
	s_load_b256 s[16:23], s[0:1], 0x248
	s_load_b128 s[24:27], s[0:1], 0x230
	s_wait_kmcnt 0x0
	v_writelane_b32 v34, s24, 14
	v_writelane_b32 v34, s25, 15
	;; [unrolled: 1-line block ×4, first 2 shown]
	s_clause 0x1
	s_load_b256 s[24:31], s[0:1], 0x210
	s_load_b256 s[36:43], s[0:1], 0x1f0
	s_clause 0x6
	s_load_b32 s46, s[6:7], 0xa4
	s_load_b32 s47, s[6:7], 0xac
	;; [unrolled: 1-line block ×5, first 2 shown]
	s_load_b32 vcc_hi, s[6:7], 0xd4
	s_load_b32 s83, s[6:7], 0xe4
	s_wait_xcnt 0x0
	s_load_b32 s0, s[6:7], 0xec
	s_wait_kmcnt 0x0
	v_writelane_b32 v34, s0, 18
	s_load_b32 s0, s[6:7], 0xf4
	s_wait_kmcnt 0x0
	v_writelane_b32 v34, s0, 19
	s_clause 0x1
	s_load_b32 s99, s[6:7], 0xfc
	s_load_b32 s0, s[6:7], 0x104
	s_wait_kmcnt 0x0
	v_writelane_b32 v34, s0, 20
	s_clause 0x5
	s_load_b32 s63, s[6:7], 0x114
	s_load_b96 s[80:82], s[6:7], 0x11c
	s_load_b32 s0, s[6:7], 0x134
	s_load_b96 s[72:74], s[6:7], 0x13c
	s_load_b96 s[68:70], s[6:7], 0x14c
	s_load_b96 s[64:66], s[6:7], 0x16c
	s_wait_xcnt 0x0
	s_mul_i32 s6, s78, s98
	s_wait_storecnt 0x0
	s_ashr_i32 s7, s6, 31
	s_barrier_signal -1
	s_barrier_wait -1
	s_wait_kmcnt 0x0
	v_writelane_b32 v34, s0, 21
	s_and_saveexec_b32 s3, s4
	s_cbranch_execz .LBB0_33
; %bb.29:
	s_abs_i32 s48, s76
	v_mov_b32_e32 v5, 0
	s_cvt_f32_u32 s0, s48
	s_sub_co_i32 s10, 0, s48
	s_mov_b32 s11, 0
	s_add_co_i32 s49, s54, s8
	v_rcp_iflag_f32_e32 v1, s0
	s_add_co_i32 s9, s55, s9
	s_not_b32 s50, s54
	s_ashr_i32 s51, s76, 31
	s_mov_b32 s52, s11
	v_nop
	s_delay_alu instid0(TRANS32_DEP_1) | instskip(SKIP_3) | instid1(SALU_CYCLE_1)
	v_readfirstlane_b32 s0, v1
	v_dual_mov_b32 v1, v0 :: v_dual_mov_b32 v3, v5
	s_mul_f32 s5, s0, 0x4f7ffffe
	s_lshl_b64 s[0:1], s[6:7], 2
	s_add_nc_u64 s[0:1], s[36:37], s[0:1]
	s_delay_alu instid0(SALU_CYCLE_1) | instskip(SKIP_1) | instid1(SALU_CYCLE_2)
	s_cvt_u32_f32 s5, s5
	v_add_nc_u64_e32 v[6:7], s[0:1], v[2:3]
	s_mul_i32 s10, s10, s5
	s_delay_alu instid0(SALU_CYCLE_1) | instskip(NEXT) | instid1(SALU_CYCLE_1)
	s_mul_hi_u32 s0, s5, s10
	s_add_co_i32 s10, s5, s0
	s_branch .LBB0_31
.LBB0_30:                               ;   in Loop: Header=BB0_31 Depth=1
	s_wait_xcnt 0x0
	s_or_b32 exec_lo, exec_lo, s0
	v_add_nc_u32_e32 v1, 0x100, v1
	s_wait_loadcnt 0x0
	global_store_b32 v[6:7], v8, off
	s_wait_xcnt 0x0
	v_add_nc_u64_e32 v[6:7], 0x400, v[6:7]
	v_cmp_le_i32_e32 vcc_lo, s78, v1
	s_or_b32 s52, vcc_lo, s52
	s_delay_alu instid0(SALU_CYCLE_1)
	s_and_not1_b32 exec_lo, exec_lo, s52
	s_cbranch_execz .LBB0_33
.LBB0_31:                               ; =>This Inner Loop Header: Depth=1
	v_add_nc_u32_e32 v3, 1, v1
	v_not_b32_e32 v4, v1
	s_delay_alu instid0(VALU_DEP_1) | instskip(NEXT) | instid1(VALU_DEP_1)
	v_max_i32_e32 v4, v3, v4
	v_mul_u64_e32 v[8:9], s[10:11], v[4:5]
	s_delay_alu instid0(VALU_DEP_1) | instskip(NEXT) | instid1(VALU_DEP_1)
	v_mul_lo_u32 v8, v9, s48
	v_dual_sub_nc_u32 v4, v4, v8 :: v_dual_add_nc_u32 v8, 1, v9
	s_delay_alu instid0(VALU_DEP_1) | instskip(SKIP_1) | instid1(VALU_DEP_1)
	v_cmp_le_u32_e32 vcc_lo, s48, v4
	v_subrev_nc_u32_e32 v10, s48, v4
	v_dual_cndmask_b32 v8, v9, v8, vcc_lo :: v_dual_cndmask_b32 v4, v4, v10, vcc_lo
	s_delay_alu instid0(VALU_DEP_1) | instskip(NEXT) | instid1(VALU_DEP_2)
	v_dual_ashrrev_i32 v9, 31, v3 :: v_dual_add_nc_u32 v10, 1, v8
	v_cmp_le_u32_e32 vcc_lo, s48, v4
	s_delay_alu instid0(VALU_DEP_2) | instskip(NEXT) | instid1(VALU_DEP_1)
	v_dual_cndmask_b32 v4, v8, v10, vcc_lo :: v_dual_bitop2_b32 v9, s51, v9 bitop3:0x14
	v_xor_b32_e32 v8, v4, v9
	s_delay_alu instid0(VALU_DEP_1) | instskip(NEXT) | instid1(VALU_DEP_1)
	v_sub_nc_u32_e32 v4, v8, v9
	v_mul_lo_u32 v4, v4, s76
	s_delay_alu instid0(VALU_DEP_1) | instskip(NEXT) | instid1(VALU_DEP_1)
	v_sub_nc_u32_e32 v3, v3, v4
	v_cmp_eq_u32_e32 vcc_lo, 0, v3
	v_cndmask_b32_e64 v4, v3, s76, vcc_lo
	v_sub_co_ci_u32_e64 v3, null, v8, v9, vcc_lo
	v_mov_b32_e32 v8, 0
	s_delay_alu instid0(VALU_DEP_3) | instskip(SKIP_1) | instid1(VALU_DEP_4)
	v_cmp_lt_i32_e32 vcc_lo, s54, v4
	v_cmp_ge_i32_e64 s0, s49, v4
	v_cmp_le_i32_e64 s1, s55, v3
	v_cmp_gt_i32_e64 s5, s9, v3
	s_and_b32 s0, vcc_lo, s0
	s_delay_alu instid0(SALU_CYCLE_1) | instskip(NEXT) | instid1(SALU_CYCLE_1)
	s_and_b32 s0, s0, s1
	s_and_b32 s1, s0, s5
	s_delay_alu instid0(SALU_CYCLE_1)
	s_and_saveexec_b32 s0, s1
	s_cbranch_execz .LBB0_30
; %bb.32:                               ;   in Loop: Header=BB0_31 Depth=1
	v_add_nc_u32_e32 v4, s50, v4
	v_subrev_nc_u32_e32 v3, s55, v3
	s_delay_alu instid0(VALU_DEP_1)
	v_mad_u32 v3, v3, s8, v4
	global_load_b32 v8, v3, s[96:97] scale_offset
	s_branch .LBB0_30
.LBB0_33:
	s_or_b32 exec_lo, exec_lo, s3
	v_mul_lo_u32 v4, v0, s76
	v_cmp_gt_i32_e64 s5, s77, v0
	s_wait_storecnt 0x0
	s_barrier_signal -1
	s_barrier_wait -1
	s_and_saveexec_b32 s3, s5
	s_cbranch_execz .LBB0_40
; %bb.34:
	v_mul_lo_u32 v6, v0, s76
	s_cmp_gt_i32 s76, 0
	v_dual_mov_b32 v7, 0 :: v_dual_mov_b32 v1, v0
	s_cselect_b32 s8, -1, 0
	s_lshl_b64 s[0:1], s[6:7], 2
	s_mov_b32 s9, 0
	s_add_nc_u64 s[0:1], s[36:37], s[0:1]
	s_lshl_b32 s10, s76, 8
	s_branch .LBB0_36
.LBB0_35:                               ;   in Loop: Header=BB0_36 Depth=1
	v_add_nc_u32_e32 v1, 0x100, v1
	v_add_nc_u32_e32 v6, s10, v6
	s_delay_alu instid0(VALU_DEP_2) | instskip(SKIP_1) | instid1(SALU_CYCLE_1)
	v_cmp_le_i32_e32 vcc_lo, s77, v1
	s_or_b32 s9, vcc_lo, s9
	s_and_not1_b32 exec_lo, exec_lo, s9
	s_cbranch_execz .LBB0_40
.LBB0_36:                               ; =>This Loop Header: Depth=1
                                        ;     Child Loop BB0_38 Depth 2
	s_and_not1_b32 vcc_lo, exec_lo, s8
	s_cbranch_vccnz .LBB0_35
; %bb.37:                               ;   in Loop: Header=BB0_36 Depth=1
	v_mul_lo_u32 v3, v1, s76
	v_lshl_add_u64 v[8:9], v[6:7], 2, s[0:1]
	s_mov_b32 s11, 0
	s_delay_alu instid0(VALU_DEP_2)
	v_dual_mov_b32 v10, 0 :: v_dual_add_nc_u32 v5, s76, v3
.LBB0_38:                               ;   Parent Loop BB0_36 Depth=1
                                        ; =>  This Inner Loop Header: Depth=2
	global_load_b32 v11, v[8:9], off
	v_add_nc_u32_e32 v3, 1, v3
	s_delay_alu instid0(VALU_DEP_1)
	v_cmp_ge_i32_e32 vcc_lo, v3, v5
	s_or_b32 s11, vcc_lo, s11
	s_wait_loadcnt 0x0
	v_add_f32_e32 v10, v10, v11
	global_store_b32 v[8:9], v10, off
	s_wait_xcnt 0x0
	v_add_nc_u64_e32 v[8:9], 4, v[8:9]
	s_and_not1_b32 exec_lo, exec_lo, s11
	s_cbranch_execnz .LBB0_38
; %bb.39:                               ;   in Loop: Header=BB0_36 Depth=1
	s_or_b32 exec_lo, exec_lo, s11
	s_branch .LBB0_35
.LBB0_40:
	s_or_b32 exec_lo, exec_lo, s3
	s_mul_i32 s0, s46, s98
	s_lshl_b64 s[8:9], s[6:7], 2
	s_ashr_i32 s1, s0, 31
	v_cmp_gt_i32_e64 s6, s46, v0
	v_xad_u32 v14, v0, -1, s46
	s_lshl_b64 s[0:1], s[0:1], 2
	s_add_nc_u64 s[52:53], s[36:37], s[8:9]
	s_add_nc_u64 s[38:39], s[38:39], s[0:1]
	s_wait_storecnt 0x0
	s_barrier_signal -1
	s_barrier_wait -1
	s_and_saveexec_b32 s7, s6
	s_cbranch_execz .LBB0_48
; %bb.41:
	v_mov_b32_e32 v6, v0
	s_mov_b32 s0, -1
	s_add_co_i32 s10, s75, -1
	s_add_co_i32 s11, s47, -2
	s_mov_b32 s1, exec_lo
	v_cmpx_lt_u32_e32 0xff, v14
	s_cbranch_execz .LBB0_45
; %bb.42:
	s_abs_i32 s36, s2
	v_dual_lshrrev_b32 v3, 8, v14 :: v_dual_mov_b32 v7, 0
	s_cvt_f32_u32 s0, s36
	s_sub_co_i32 s8, 0, s36
	s_mov_b32 s9, 0
	s_delay_alu instid0(VALU_DEP_1)
	v_add_nc_u32_e32 v3, 1, v3
	v_rcp_iflag_f32_e32 v1, s0
	s_mov_b32 s37, s10
	s_mov_b32 s79, s11
	;; [unrolled: 1-line block ×3, first 2 shown]
	v_and_b32_e32 v5, 0x1fffffe, v3
	s_mov_b32 s85, s76
	s_mov_b32 s67, s76
	v_readfirstlane_b32 s0, v1
	v_add_nc_u32_e32 v1, 0x100, v0
	s_ashr_i32 s48, s2, 31
	s_mov_b32 s49, s9
	s_mul_f32 s0, s0, 0x4f7ffffe
	s_delay_alu instid0(VALU_DEP_1) | instskip(SKIP_1) | instid1(SALU_CYCLE_1)
	v_mov_b64_e32 v[8:9], v[0:1]
	v_mov_b32_e32 v1, v5
	s_cvt_u32_f32 s0, s0
	s_delay_alu instid0(SALU_CYCLE_3) | instskip(NEXT) | instid1(SALU_CYCLE_1)
	s_mul_i32 s8, s8, s0
	s_mul_hi_u32 s8, s0, s8
	s_delay_alu instid0(SALU_CYCLE_1)
	s_add_co_i32 s8, s0, s8
.LBB0_43:                               ; =>This Inner Loop Header: Depth=1
	s_delay_alu instid0(VALU_DEP_2) | instskip(SKIP_2) | instid1(VALU_DEP_3)
	v_dual_add_nc_u32 v15, 1, v8 :: v_dual_add_nc_u32 v16, 1, v9
	v_not_b32_e32 v6, v8
	v_not_b32_e32 v12, v9
	v_dual_add_nc_u32 v1, -2, v1 :: v_dual_ashrrev_i32 v17, 31, v15
	s_delay_alu instid0(VALU_DEP_3) | instskip(NEXT) | instid1(VALU_DEP_2)
	v_dual_ashrrev_i32 v18, 31, v16 :: v_dual_max_i32 v6, v15, v6
	v_xor_b32_e32 v17, s48, v17
	s_delay_alu instid0(VALU_DEP_2) | instskip(NEXT) | instid1(VALU_DEP_1)
	v_mul_u64_e32 v[10:11], s[8:9], v[6:7]
	v_mul_lo_u32 v10, v11, s36
	s_delay_alu instid0(VALU_DEP_1) | instskip(NEXT) | instid1(VALU_DEP_1)
	v_dual_sub_nc_u32 v10, v6, v10 :: v_dual_max_i32 v6, v16, v12
	v_subrev_nc_u32_e32 v20, s36, v10
	s_delay_alu instid0(VALU_DEP_2) | instskip(SKIP_1) | instid1(VALU_DEP_2)
	v_mul_u64_e32 v[12:13], s[8:9], v[6:7]
	v_cmp_le_u32_e32 vcc_lo, s36, v10
	v_mul_lo_u32 v12, v13, s36
	s_delay_alu instid0(VALU_DEP_1) | instskip(NEXT) | instid1(VALU_DEP_1)
	v_dual_add_nc_u32 v19, 1, v11 :: v_dual_sub_nc_u32 v6, v6, v12
	v_dual_cndmask_b32 v11, v11, v19 :: v_dual_add_nc_u32 v12, 1, v13
	v_cndmask_b32_e32 v10, v10, v20, vcc_lo
	s_delay_alu instid0(VALU_DEP_3) | instskip(SKIP_1) | instid1(VALU_DEP_1)
	v_cmp_le_u32_e64 s0, s36, v6
	v_subrev_nc_u32_e32 v21, s36, v6
	v_dual_cndmask_b32 v12, v13, v12, s0 :: v_dual_cndmask_b32 v6, v6, v21, s0
	v_add_nc_u32_e32 v13, 1, v11
	v_cmp_le_u32_e32 vcc_lo, s36, v10
	s_delay_alu instid0(VALU_DEP_3) | instskip(NEXT) | instid1(VALU_DEP_4)
	v_add_nc_u32_e32 v10, 1, v12
	v_cmp_le_u32_e64 s0, s36, v6
	s_delay_alu instid0(VALU_DEP_4) | instskip(NEXT) | instid1(VALU_DEP_2)
	v_dual_cndmask_b32 v11, v11, v13, vcc_lo :: v_dual_bitop2_b32 v6, s48, v18 bitop3:0x14
	v_cndmask_b32_e64 v10, v12, v10, s0
	s_delay_alu instid0(VALU_DEP_1) | instskip(NEXT) | instid1(VALU_DEP_1)
	v_xor_b32_e32 v10, v10, v6
	v_dual_sub_nc_u32 v6, v10, v6 :: v_dual_bitop2_b32 v11, v11, v17 bitop3:0x14
	s_delay_alu instid0(VALU_DEP_1) | instskip(NEXT) | instid1(VALU_DEP_2)
	v_sub_nc_u32_e32 v11, v11, v17
	v_mul_lo_u32 v12, v6, s3
	s_delay_alu instid0(VALU_DEP_2) | instskip(SKIP_1) | instid1(VALU_DEP_2)
	v_mul_lo_u32 v10, v11, s2
	v_dual_add_nc_u32 v11, s10, v11 :: v_dual_add_nc_u32 v6, s37, v6
	v_dual_sub_nc_u32 v12, v16, v12 :: v_dual_sub_nc_u32 v10, v15, v10
	s_delay_alu instid0(VALU_DEP_1) | instskip(NEXT) | instid1(VALU_DEP_2)
	v_cmp_eq_u32_e64 s0, 0, v12
	v_cmp_eq_u32_e32 vcc_lo, 0, v10
	s_delay_alu instid0(VALU_DEP_2) | instskip(SKIP_3) | instid1(VALU_DEP_3)
	v_cndmask_b32_e64 v12, v12, s3, s0
	v_cndmask_b32_e64 v10, v10, s2, vcc_lo
	v_subrev_co_ci_u32_e64 v11, null, 0, v11, vcc_lo
	v_subrev_co_ci_u32_e64 v6, null, 0, v6, s0
	v_dual_add_nc_u32 v10, s11, v10 :: v_dual_add_nc_u32 v12, s79, v12
	v_cmp_eq_u32_e32 vcc_lo, 0, v1
	s_delay_alu instid0(VALU_DEP_2) | instskip(NEXT) | instid1(VALU_DEP_3)
	v_mad_u32 v10, v11, s85, v10
	v_mad_u32 v6, v6, s67, v12
	s_clause 0x1
	global_load_b32 v15, v10, s[52:53] scale_offset
	global_load_b32 v16, v6, s[52:53] scale_offset
	s_wait_xcnt 0x0
	v_mov_b32_e32 v6, v8
	v_add_nc_u32_e32 v8, 0x200, v8
	s_or_b32 s49, vcc_lo, s49
	s_delay_alu instid0(VALU_DEP_2) | instskip(SKIP_1) | instid1(VALU_DEP_1)
	v_lshl_add_u64 v[10:11], v[6:7], 2, s[38:39]
	v_dual_mov_b32 v6, v9 :: v_dual_add_nc_u32 v9, 0x200, v9
	v_lshl_add_u64 v[12:13], v[6:7], 2, s[38:39]
	s_wait_loadcnt 0x1
	global_store_b32 v[10:11], v15, off
	s_wait_loadcnt 0x0
	global_store_b32 v[12:13], v16, off
	s_wait_xcnt 0x0
	s_and_not1_b32 exec_lo, exec_lo, s49
	s_cbranch_execnz .LBB0_43
; %bb.44:
	s_or_b32 exec_lo, exec_lo, s49
	v_cmp_ne_u32_e32 vcc_lo, v3, v5
	v_lshl_add_u32 v6, v5, 8, v0
	s_or_not1_b32 s0, vcc_lo, exec_lo
.LBB0_45:
	s_or_b32 exec_lo, exec_lo, s1
	s_delay_alu instid0(SALU_CYCLE_1)
	s_and_b32 exec_lo, exec_lo, s0
	s_cbranch_execz .LBB0_48
; %bb.46:
	s_abs_i32 s3, s2
	v_mov_b32_e32 v9, 0
	s_cvt_f32_u32 s0, s3
	s_sub_co_i32 s1, 0, s3
	s_ashr_i32 s8, s2, 31
	s_delay_alu instid0(VALU_DEP_1) | instskip(SKIP_1) | instid1(VALU_DEP_1)
	v_mov_b32_e32 v7, v9
	v_rcp_iflag_f32_e32 v1, s0
	v_lshl_add_u64 v[10:11], v[6:7], 2, s[38:39]
	s_delay_alu instid0(TRANS32_DEP_1) | instskip(SKIP_1) | instid1(SALU_CYCLE_3)
	v_readfirstlane_b32 s0, v1
	s_mul_f32 s0, s0, 0x4f7ffffe
	s_cvt_u32_f32 s0, s0
	s_delay_alu instid0(SALU_CYCLE_3) | instskip(NEXT) | instid1(SALU_CYCLE_1)
	s_mul_i32 s1, s1, s0
	s_mul_hi_u32 s9, s0, s1
	s_mov_b32 s1, 0
	s_add_co_i32 s0, s0, s9
	s_mov_b32 s9, s1
.LBB0_47:                               ; =>This Inner Loop Header: Depth=1
	v_add_nc_u32_e32 v1, 1, v6
	v_not_b32_e32 v3, v6
	v_add_nc_u32_e32 v6, 0x100, v6
	s_delay_alu instid0(VALU_DEP_2) | instskip(NEXT) | instid1(VALU_DEP_1)
	v_max_i32_e32 v8, v1, v3
	v_mul_u64_e32 v[12:13], s[0:1], v[8:9]
	s_delay_alu instid0(VALU_DEP_1) | instskip(NEXT) | instid1(VALU_DEP_1)
	v_mul_lo_u32 v3, v13, s3
	v_dual_add_nc_u32 v5, 1, v13 :: v_dual_sub_nc_u32 v3, v8, v3
	s_delay_alu instid0(VALU_DEP_1) | instskip(SKIP_1) | instid1(VALU_DEP_1)
	v_cmp_le_u32_e32 vcc_lo, s3, v3
	v_subrev_nc_u32_e32 v7, s3, v3
	v_dual_cndmask_b32 v5, v13, v5, vcc_lo :: v_dual_cndmask_b32 v3, v3, v7, vcc_lo
	s_delay_alu instid0(VALU_DEP_1) | instskip(NEXT) | instid1(VALU_DEP_2)
	v_add_nc_u32_e32 v8, 1, v5
	v_cmp_le_u32_e32 vcc_lo, s3, v3
	s_delay_alu instid0(VALU_DEP_2) | instskip(NEXT) | instid1(VALU_DEP_1)
	v_dual_ashrrev_i32 v7, 31, v1 :: v_dual_cndmask_b32 v5, v5, v8, vcc_lo
	v_xor_b32_e32 v3, s8, v7
	s_delay_alu instid0(VALU_DEP_1) | instskip(NEXT) | instid1(VALU_DEP_1)
	v_xor_b32_e32 v5, v5, v3
	v_sub_nc_u32_e32 v3, v5, v3
	s_delay_alu instid0(VALU_DEP_1) | instskip(NEXT) | instid1(VALU_DEP_1)
	v_mul_lo_u32 v5, v3, s2
	v_sub_nc_u32_e32 v1, v1, v5
	s_delay_alu instid0(VALU_DEP_1) | instskip(SKIP_1) | instid1(VALU_DEP_1)
	v_cmp_eq_u32_e32 vcc_lo, 0, v1
	v_cndmask_b32_e64 v1, v1, s2, vcc_lo
	v_dual_add_nc_u32 v1, s11, v1 :: v_dual_add_nc_u32 v3, s10, v3
	s_delay_alu instid0(VALU_DEP_1) | instskip(SKIP_1) | instid1(VALU_DEP_2)
	v_subrev_co_ci_u32_e64 v3, null, 0, v3, vcc_lo
	v_cmp_le_i32_e32 vcc_lo, s46, v6
	v_mad_u32 v1, v3, s76, v1
	s_or_b32 s9, vcc_lo, s9
	global_load_b32 v1, v1, s[52:53] scale_offset
	s_wait_loadcnt 0x0
	global_store_b32 v[10:11], v1, off
	s_wait_xcnt 0x0
	v_add_nc_u64_e32 v[10:11], 0x400, v[10:11]
	s_and_not1_b32 exec_lo, exec_lo, s9
	s_cbranch_execnz .LBB0_47
.LBB0_48:
	s_or_b32 exec_lo, exec_lo, s7
	s_mul_i32 s8, vcc_hi, s98
	v_cmp_gt_i32_e64 s1, vcc_hi, v0
	s_ashr_i32 s9, s8, 31
	v_xad_u32 v13, v0, -1, vcc_hi
	s_lshl_b64 s[8:9], s[8:9], 2
	s_wait_storecnt 0x0
	s_add_nc_u64 s[36:37], s[40:41], s[8:9]
	s_barrier_signal -1
	s_barrier_wait -1
	s_and_saveexec_b32 s7, s1
	s_cbranch_execz .LBB0_56
; %bb.49:
	v_mov_b32_e32 v6, v0
	s_mov_b32 s0, -1
	s_add_co_i32 s10, s45, -1
	s_add_co_i32 s11, s44, -2
	s_mov_b32 s40, exec_lo
	v_cmpx_lt_u32_e32 0xff, v13
	s_cbranch_execz .LBB0_53
; %bb.50:
	s_abs_i32 s41, s94
	v_dual_lshrrev_b32 v3, 8, v13 :: v_dual_mov_b32 v7, 0
	s_cvt_f32_u32 s0, s41
	s_sub_co_i32 s8, 0, s41
	s_mov_b32 s9, 0
	s_delay_alu instid0(VALU_DEP_1)
	v_add_nc_u32_e32 v3, 1, v3
	v_rcp_iflag_f32_e32 v1, s0
	s_mov_b32 s79, s10
	s_mov_b32 s85, s11
	;; [unrolled: 1-line block ×3, first 2 shown]
	v_and_b32_e32 v5, 0x1fffffe, v3
	s_mov_b32 s95, s76
	s_mov_b32 s67, s76
	v_readfirstlane_b32 s0, v1
	v_add_nc_u32_e32 v1, 0x100, v0
	s_ashr_i32 s48, s94, 31
	s_mov_b32 s49, s9
	s_mul_f32 s0, s0, 0x4f7ffffe
	s_delay_alu instid0(VALU_DEP_1) | instskip(SKIP_1) | instid1(SALU_CYCLE_1)
	v_mov_b64_e32 v[8:9], v[0:1]
	v_mov_b32_e32 v1, v5
	s_cvt_u32_f32 s0, s0
	s_delay_alu instid0(SALU_CYCLE_3) | instskip(NEXT) | instid1(SALU_CYCLE_1)
	s_mul_i32 s8, s8, s0
	s_mul_hi_u32 s8, s0, s8
	s_delay_alu instid0(SALU_CYCLE_1)
	s_add_co_i32 s8, s0, s8
.LBB0_51:                               ; =>This Inner Loop Header: Depth=1
	s_delay_alu instid0(VALU_DEP_2) | instskip(SKIP_2) | instid1(VALU_DEP_3)
	v_dual_add_nc_u32 v12, 1, v8 :: v_dual_add_nc_u32 v15, 1, v9
	v_not_b32_e32 v6, v8
	v_not_b32_e32 v16, v9
	v_dual_add_nc_u32 v1, -2, v1 :: v_dual_ashrrev_i32 v18, 31, v12
	s_delay_alu instid0(VALU_DEP_3) | instskip(NEXT) | instid1(VALU_DEP_2)
	v_dual_ashrrev_i32 v19, 31, v15 :: v_dual_max_i32 v6, v12, v6
	v_xor_b32_e32 v18, s48, v18
	s_delay_alu instid0(VALU_DEP_2) | instskip(NEXT) | instid1(VALU_DEP_1)
	v_mul_u64_e32 v[10:11], s[8:9], v[6:7]
	v_mul_lo_u32 v10, v11, s41
	s_delay_alu instid0(VALU_DEP_1) | instskip(NEXT) | instid1(VALU_DEP_1)
	v_dual_sub_nc_u32 v10, v6, v10 :: v_dual_max_i32 v6, v15, v16
	v_subrev_nc_u32_e32 v21, s41, v10
	s_delay_alu instid0(VALU_DEP_2) | instskip(SKIP_1) | instid1(VALU_DEP_2)
	v_mul_u64_e32 v[16:17], s[8:9], v[6:7]
	v_cmp_le_u32_e32 vcc_lo, s41, v10
	v_mul_lo_u32 v16, v17, s41
	s_delay_alu instid0(VALU_DEP_1) | instskip(NEXT) | instid1(VALU_DEP_1)
	v_dual_add_nc_u32 v20, 1, v11 :: v_dual_sub_nc_u32 v6, v6, v16
	v_dual_cndmask_b32 v11, v11, v20 :: v_dual_add_nc_u32 v16, 1, v17
	s_delay_alu instid0(VALU_DEP_2) | instskip(SKIP_1) | instid1(VALU_DEP_2)
	v_cmp_le_u32_e64 s0, s41, v6
	v_subrev_nc_u32_e32 v22, s41, v6
	v_dual_cndmask_b32 v10, v10, v21, vcc_lo :: v_dual_cndmask_b32 v16, v17, v16, s0
	s_delay_alu instid0(VALU_DEP_2) | instskip(NEXT) | instid1(VALU_DEP_2)
	v_dual_cndmask_b32 v6, v6, v22, s0 :: v_dual_add_nc_u32 v17, 1, v11
	v_cmp_le_u32_e32 vcc_lo, s41, v10
	s_delay_alu instid0(VALU_DEP_3) | instskip(NEXT) | instid1(VALU_DEP_3)
	v_add_nc_u32_e32 v10, 1, v16
	v_cmp_le_u32_e64 s0, s41, v6
	s_delay_alu instid0(VALU_DEP_4) | instskip(NEXT) | instid1(VALU_DEP_2)
	v_dual_cndmask_b32 v11, v11, v17, vcc_lo :: v_dual_bitop2_b32 v6, s48, v19 bitop3:0x14
	v_cndmask_b32_e64 v10, v16, v10, s0
	s_delay_alu instid0(VALU_DEP_2) | instskip(NEXT) | instid1(VALU_DEP_2)
	v_xor_b32_e32 v11, v11, v18
	v_xor_b32_e32 v10, v10, v6
	s_delay_alu instid0(VALU_DEP_2) | instskip(NEXT) | instid1(VALU_DEP_2)
	v_sub_nc_u32_e32 v11, v11, v18
	v_sub_nc_u32_e32 v6, v10, v6
	s_delay_alu instid0(VALU_DEP_2) | instskip(SKIP_1) | instid1(VALU_DEP_3)
	v_mul_lo_u32 v10, v11, s94
	v_add_nc_u32_e32 v11, s10, v11
	v_mul_lo_u32 v16, v6, s3
	v_add_nc_u32_e32 v6, s79, v6
	s_delay_alu instid0(VALU_DEP_2) | instskip(NEXT) | instid1(VALU_DEP_1)
	v_dual_sub_nc_u32 v10, v12, v10 :: v_dual_sub_nc_u32 v12, v15, v16
	v_cmp_eq_u32_e32 vcc_lo, 0, v10
	s_delay_alu instid0(VALU_DEP_2) | instskip(SKIP_2) | instid1(VALU_DEP_3)
	v_cmp_eq_u32_e64 s0, 0, v12
	v_cndmask_b32_e64 v10, v10, s94, vcc_lo
	v_subrev_co_ci_u32_e64 v11, null, 0, v11, vcc_lo
	v_cndmask_b32_e64 v12, v12, s3, s0
	v_subrev_co_ci_u32_e64 v6, null, 0, v6, s0
	s_delay_alu instid0(VALU_DEP_4) | instskip(SKIP_1) | instid1(VALU_DEP_4)
	v_add_nc_u32_e32 v10, s11, v10
	v_cmp_eq_u32_e32 vcc_lo, 0, v1
	v_add_nc_u32_e32 v12, s85, v12
	s_delay_alu instid0(VALU_DEP_3) | instskip(SKIP_1) | instid1(VALU_DEP_2)
	v_mad_u32 v10, v11, s95, v10
	s_or_b32 s49, vcc_lo, s49
	v_mad_u32 v6, v6, s67, v12
	s_clause 0x1
	global_load_b32 v12, v10, s[52:53] scale_offset
	global_load_b32 v15, v6, s[52:53] scale_offset
	s_wait_xcnt 0x0
	v_mov_b32_e32 v6, v8
	v_add_nc_u32_e32 v8, 0x200, v8
	s_delay_alu instid0(VALU_DEP_2) | instskip(SKIP_1) | instid1(VALU_DEP_1)
	v_lshl_add_u64 v[10:11], v[6:7], 2, s[36:37]
	v_dual_mov_b32 v6, v9 :: v_dual_add_nc_u32 v9, 0x200, v9
	v_lshl_add_u64 v[16:17], v[6:7], 2, s[36:37]
	s_wait_loadcnt 0x1
	global_store_b32 v[10:11], v12, off
	s_wait_loadcnt 0x0
	global_store_b32 v[16:17], v15, off
	s_wait_xcnt 0x0
	s_and_not1_b32 exec_lo, exec_lo, s49
	s_cbranch_execnz .LBB0_51
; %bb.52:
	s_or_b32 exec_lo, exec_lo, s49
	v_cmp_ne_u32_e32 vcc_lo, v3, v5
	v_lshl_add_u32 v6, v5, 8, v0
	s_or_not1_b32 s0, vcc_lo, exec_lo
.LBB0_53:
	s_or_b32 exec_lo, exec_lo, s40
	s_delay_alu instid0(SALU_CYCLE_1)
	s_and_b32 exec_lo, exec_lo, s0
	s_cbranch_execz .LBB0_56
; %bb.54:
	s_abs_i32 s0, s94
	v_mov_b32_e32 v9, 0
	s_cvt_f32_u32 s3, s0
	s_sub_co_i32 s9, 0, s0
	s_delay_alu instid0(VALU_DEP_1) | instskip(NEXT) | instid1(SALU_CYCLE_1)
	v_mov_b32_e32 v7, v9
	v_rcp_iflag_f32_e32 v1, s3
	s_delay_alu instid0(VALU_DEP_1) | instskip(NEXT) | instid1(TRANS32_DEP_1)
	v_lshl_add_u64 v[10:11], v[6:7], 2, s[36:37]
	v_readfirstlane_b32 s3, v1
	s_mul_f32 s3, s3, 0x4f7ffffe
	s_delay_alu instid0(SALU_CYCLE_3) | instskip(SKIP_1) | instid1(SALU_CYCLE_2)
	s_cvt_u32_f32 s8, s3
	s_ashr_i32 s3, s94, 31
	s_mul_i32 s9, s9, s8
	s_delay_alu instid0(SALU_CYCLE_1)
	s_mul_hi_u32 s40, s8, s9
	s_mov_b32 s9, 0
	s_add_co_i32 s8, s8, s40
	s_mov_b32 s40, s9
.LBB0_55:                               ; =>This Inner Loop Header: Depth=1
	v_add_nc_u32_e32 v1, 1, v6
	v_not_b32_e32 v3, v6
	v_add_nc_u32_e32 v6, 0x100, v6
	s_delay_alu instid0(VALU_DEP_2) | instskip(NEXT) | instid1(VALU_DEP_1)
	v_max_i32_e32 v8, v1, v3
	v_mul_u64_e32 v[16:17], s[8:9], v[8:9]
	s_delay_alu instid0(VALU_DEP_1) | instskip(NEXT) | instid1(VALU_DEP_1)
	v_mul_lo_u32 v3, v17, s0
	v_dual_add_nc_u32 v5, 1, v17 :: v_dual_sub_nc_u32 v3, v8, v3
	s_delay_alu instid0(VALU_DEP_1) | instskip(SKIP_1) | instid1(VALU_DEP_1)
	v_cmp_le_u32_e32 vcc_lo, s0, v3
	v_subrev_nc_u32_e32 v7, s0, v3
	v_dual_cndmask_b32 v5, v17, v5, vcc_lo :: v_dual_cndmask_b32 v3, v3, v7, vcc_lo
	s_delay_alu instid0(VALU_DEP_1) | instskip(NEXT) | instid1(VALU_DEP_2)
	v_add_nc_u32_e32 v8, 1, v5
	v_cmp_le_u32_e32 vcc_lo, s0, v3
	s_delay_alu instid0(VALU_DEP_2) | instskip(NEXT) | instid1(VALU_DEP_1)
	v_dual_ashrrev_i32 v7, 31, v1 :: v_dual_cndmask_b32 v5, v5, v8, vcc_lo
	v_xor_b32_e32 v3, s3, v7
	s_delay_alu instid0(VALU_DEP_1) | instskip(NEXT) | instid1(VALU_DEP_1)
	v_xor_b32_e32 v5, v5, v3
	v_sub_nc_u32_e32 v3, v5, v3
	s_delay_alu instid0(VALU_DEP_1) | instskip(NEXT) | instid1(VALU_DEP_1)
	v_mul_lo_u32 v5, v3, s94
	v_sub_nc_u32_e32 v1, v1, v5
	s_delay_alu instid0(VALU_DEP_1) | instskip(SKIP_1) | instid1(VALU_DEP_1)
	v_cmp_eq_u32_e32 vcc_lo, 0, v1
	v_cndmask_b32_e64 v1, v1, s94, vcc_lo
	v_dual_add_nc_u32 v1, s11, v1 :: v_dual_add_nc_u32 v3, s10, v3
	s_delay_alu instid0(VALU_DEP_1) | instskip(SKIP_1) | instid1(VALU_DEP_2)
	v_subrev_co_ci_u32_e64 v3, null, 0, v3, vcc_lo
	v_cmp_le_i32_e32 vcc_lo, vcc_hi, v6
	v_mad_u32 v1, v3, s76, v1
	s_or_b32 s40, vcc_lo, s40
	global_load_b32 v1, v1, s[52:53] scale_offset
	s_wait_loadcnt 0x0
	global_store_b32 v[10:11], v1, off
	s_wait_xcnt 0x0
	v_add_nc_u64_e32 v[10:11], 0x400, v[10:11]
	s_and_not1_b32 exec_lo, exec_lo, s40
	s_cbranch_execnz .LBB0_55
.LBB0_56:
	s_or_b32 exec_lo, exec_lo, s7
	s_wait_storecnt 0x0
	s_barrier_signal -1
	s_barrier_wait -1
	s_and_saveexec_b32 s0, s1
	s_cbranch_execz .LBB0_64
; %bb.57:
	v_mov_b32_e32 v6, v0
	s_mov_b32 s7, -1
	s_mov_b32 s3, exec_lo
	v_cmpx_lt_u32_e32 0x2ff, v13
	s_cbranch_execz .LBB0_61
; %bb.58:
	v_dual_lshrrev_b32 v1, 8, v13 :: v_dual_mov_b32 v7, 0
	s_mov_b32 s7, 0
	s_delay_alu instid0(VALU_DEP_1) | instskip(SKIP_1) | instid1(VALU_DEP_2)
	v_add_nc_u32_e32 v3, 1, v1
	v_add_nc_u32_e32 v1, 0x100, v0
	v_and_b32_e32 v5, 0x1fffffc, v3
	s_delay_alu instid0(VALU_DEP_2) | instskip(NEXT) | instid1(VALU_DEP_2)
	v_mov_b64_e32 v[8:9], v[0:1]
	v_mov_b32_e32 v10, v5
.LBB0_59:                               ; =>This Inner Loop Header: Depth=1
	s_delay_alu instid0(VALU_DEP_2) | instskip(NEXT) | instid1(VALU_DEP_3)
	v_dual_mov_b32 v6, v8 :: v_dual_mov_b32 v17, v7
	v_dual_mov_b32 v19, v7 :: v_dual_add_nc_u32 v16, 0x200, v9
	v_add_nc_u32_e32 v18, 0x200, v8
	s_delay_alu instid0(VALU_DEP_3) | instskip(SKIP_1) | instid1(VALU_DEP_4)
	v_lshlrev_b64_e32 v[20:21], 2, v[6:7]
	v_dual_mov_b32 v6, v9 :: v_dual_add_nc_u32 v10, -4, v10
	v_lshlrev_b64_e32 v[16:17], 2, v[16:17]
	s_delay_alu instid0(VALU_DEP_4) | instskip(SKIP_1) | instid1(VALU_DEP_4)
	v_lshlrev_b64_e32 v[18:19], 2, v[18:19]
	v_add_nc_u32_e32 v8, 0x400, v8
	v_lshlrev_b64_e32 v[22:23], 2, v[6:7]
	v_add_nc_u64_e32 v[24:25], s[38:39], v[20:21]
	v_add_nc_u64_e32 v[20:21], s[36:37], v[20:21]
	v_cmp_eq_u32_e32 vcc_lo, 0, v10
	v_add_nc_u64_e32 v[28:29], s[38:39], v[16:17]
	v_add_nc_u64_e32 v[26:27], s[38:39], v[18:19]
	;; [unrolled: 1-line block ×6, first 2 shown]
	global_load_b32 v32, v[20:21], off
	s_clause 0x2
	global_load_b32 v24, v[24:25], off
	global_load_b32 v26, v[26:27], off
	;; [unrolled: 1-line block ×3, first 2 shown]
	s_clause 0x1
	global_load_b32 v28, v[18:19], off
	global_load_b32 v29, v[16:17], off
	global_load_b32 v25, v[30:31], off
	global_load_b32 v33, v[22:23], off
	v_add_nc_u32_e32 v9, 0x400, v9
	s_or_b32 s7, vcc_lo, s7
	s_wait_loadcnt 0x2
	v_pk_add_f32 v[26:27], v[26:27], v[28:29] neg_lo:[0,1] neg_hi:[0,1]
	s_wait_loadcnt 0x0
	v_pk_add_f32 v[24:25], v[24:25], v[32:33] neg_lo:[0,1] neg_hi:[0,1]
	s_clause 0x3
	global_store_b32 v[20:21], v24, off
	global_store_b32 v[22:23], v25, off
	global_store_b32 v[18:19], v26, off
	global_store_b32 v[16:17], v27, off
	s_wait_xcnt 0x0
	s_and_not1_b32 exec_lo, exec_lo, s7
	s_cbranch_execnz .LBB0_59
; %bb.60:
	s_or_b32 exec_lo, exec_lo, s7
	v_cmp_ne_u32_e32 vcc_lo, v3, v5
	v_lshl_or_b32 v6, v5, 8, v0
	s_or_not1_b32 s7, vcc_lo, exec_lo
.LBB0_61:
	s_or_b32 exec_lo, exec_lo, s3
	s_delay_alu instid0(SALU_CYCLE_1)
	s_and_b32 exec_lo, exec_lo, s7
	s_cbranch_execz .LBB0_64
; %bb.62:
	v_mov_b32_e32 v7, 0
	s_mov_b32 s3, 0
	s_delay_alu instid0(VALU_DEP_1) | instskip(NEXT) | instid1(VALU_DEP_1)
	v_lshlrev_b64_e32 v[10:11], 2, v[6:7]
	v_add_nc_u64_e32 v[8:9], s[38:39], v[10:11]
	v_add_nc_u64_e32 v[10:11], s[36:37], v[10:11]
.LBB0_63:                               ; =>This Inner Loop Header: Depth=1
	global_load_b32 v1, v[8:9], off
	global_load_b32 v3, v[10:11], off
	v_add_nc_u32_e32 v6, 0x100, v6
	s_wait_xcnt 0x1
	v_add_nc_u64_e32 v[8:9], 0x400, v[8:9]
	s_wait_loadcnt 0x0
	v_sub_f32_e32 v1, v1, v3
	v_cmp_le_i32_e32 vcc_lo, vcc_hi, v6
	global_store_b32 v[10:11], v1, off
	s_wait_xcnt 0x0
	v_add_nc_u64_e32 v[10:11], 0x400, v[10:11]
	s_or_b32 s3, vcc_lo, s3
	s_delay_alu instid0(SALU_CYCLE_1)
	s_and_not1_b32 exec_lo, exec_lo, s3
	s_cbranch_execnz .LBB0_63
.LBB0_64:
	s_or_b32 exec_lo, exec_lo, s0
	v_cmp_gt_i32_e64 s7, s94, v0
	s_wait_storecnt 0x0
	s_barrier_signal -1
	s_barrier_wait -1
	s_and_saveexec_b32 s0, s7
	s_cbranch_execz .LBB0_71
; %bb.65:
	v_dual_mov_b32 v3, 0 :: v_dual_mov_b32 v1, v0
	s_cmp_gt_i32 vcc_hi, 0
	s_mov_b32 s10, 0
	s_cselect_b32 s3, -1, 0
	s_delay_alu instid0(VALU_DEP_1) | instskip(SKIP_1) | instid1(SALU_CYCLE_1)
	v_add_nc_u64_e32 v[6:7], s[36:37], v[2:3]
	s_ashr_i32 s95, s94, 31
	s_lshl_b64 s[8:9], s[94:95], 2
	s_branch .LBB0_67
.LBB0_66:                               ;   in Loop: Header=BB0_67 Depth=1
	v_add_nc_u32_e32 v1, 0x100, v1
	v_add_nc_u64_e32 v[6:7], 0x400, v[6:7]
	s_delay_alu instid0(VALU_DEP_2) | instskip(SKIP_1) | instid1(SALU_CYCLE_1)
	v_cmp_le_i32_e32 vcc_lo, s94, v1
	s_or_b32 s10, vcc_lo, s10
	s_and_not1_b32 exec_lo, exec_lo, s10
	s_cbranch_execz .LBB0_71
.LBB0_67:                               ; =>This Loop Header: Depth=1
                                        ;     Child Loop BB0_69 Depth 2
	s_and_not1_b32 vcc_lo, exec_lo, s3
	s_cbranch_vccnz .LBB0_66
; %bb.68:                               ;   in Loop: Header=BB0_67 Depth=1
	s_delay_alu instid0(VALU_DEP_1)
	v_mov_b64_e32 v[8:9], v[6:7]
	v_dual_add_nc_u32 v3, vcc_hi, v1 :: v_dual_mov_b32 v5, 0
	v_mov_b32_e32 v10, v1
	s_mov_b32 s11, 0
.LBB0_69:                               ;   Parent Loop BB0_67 Depth=1
                                        ; =>  This Inner Loop Header: Depth=2
	global_load_b32 v11, v[8:9], off
	s_wait_loadcnt 0x0
	v_dual_add_f32 v5, v5, v11 :: v_dual_add_nc_u32 v10, s94, v10
	s_delay_alu instid0(VALU_DEP_1) | instskip(SKIP_4) | instid1(SALU_CYCLE_1)
	v_cmp_ge_i32_e32 vcc_lo, v10, v3
	global_store_b32 v[8:9], v5, off
	s_wait_xcnt 0x0
	v_add_nc_u64_e32 v[8:9], s[8:9], v[8:9]
	s_or_b32 s11, vcc_lo, s11
	s_and_not1_b32 exec_lo, exec_lo, s11
	s_cbranch_execnz .LBB0_69
; %bb.70:                               ;   in Loop: Header=BB0_67 Depth=1
	s_or_b32 exec_lo, exec_lo, s11
	s_branch .LBB0_66
.LBB0_71:
	s_or_b32 exec_lo, exec_lo, s0
	s_mul_i32 s10, s83, s98
	v_cmp_gt_i32_e64 s8, s83, v0
	s_ashr_i32 s11, s10, 31
	v_xad_u32 v15, v0, -1, s83
	s_lshl_b64 s[10:11], s[10:11], 2
	s_wait_storecnt 0x0
	s_add_nc_u64 s[40:41], s[42:43], s[10:11]
	s_barrier_signal -1
	s_barrier_wait -1
	s_and_saveexec_b32 s9, s8
	s_cbranch_execz .LBB0_79
; %bb.72:
	v_readlane_b32 s3, v34, 19
	v_mov_b32_e32 v6, v0
	s_mov_b32 s0, -1
	s_mov_b32 s95, exec_lo
	s_add_co_i32 s42, s3, -1
	v_readlane_b32 s3, v34, 18
	s_add_co_i32 s43, s3, -2
	v_cmpx_lt_u32_e32 0xff, v15
	s_cbranch_execz .LBB0_76
; %bb.73:
	s_abs_i32 s79, s71
	v_dual_lshrrev_b32 v3, 8, v15 :: v_dual_mov_b32 v7, 0
	s_cvt_f32_u32 s0, s79
	s_sub_co_i32 s10, 0, s79
	s_mov_b32 s11, 0
	s_delay_alu instid0(VALU_DEP_1)
	v_add_nc_u32_e32 v3, 1, v3
	v_rcp_iflag_f32_e32 v1, s0
	s_mov_b32 s51, s99
	s_mov_b32 s85, s42
	s_mov_b32 s3, s43
	v_and_b32_e32 v5, 0x1fffffe, v3
	s_mov_b32 s99, s71
	s_mov_b32 s48, s94
	v_readfirstlane_b32 s0, v1
	v_add_nc_u32_e32 v1, 0x100, v0
	s_ashr_i32 s49, s71, 31
	s_mov_b32 s50, s11
	s_mul_f32 s0, s0, 0x4f7ffffe
	s_delay_alu instid0(VALU_DEP_1) | instskip(SKIP_1) | instid1(SALU_CYCLE_1)
	v_mov_b64_e32 v[8:9], v[0:1]
	v_mov_b32_e32 v1, v5
	s_cvt_u32_f32 s0, s0
	s_delay_alu instid0(SALU_CYCLE_3) | instskip(NEXT) | instid1(SALU_CYCLE_1)
	s_mul_i32 s10, s10, s0
	s_mul_hi_u32 s10, s0, s10
	s_delay_alu instid0(SALU_CYCLE_1)
	s_add_co_i32 s10, s0, s10
.LBB0_74:                               ; =>This Inner Loop Header: Depth=1
	s_delay_alu instid0(VALU_DEP_2) | instskip(SKIP_2) | instid1(VALU_DEP_3)
	v_dual_add_nc_u32 v12, 1, v8 :: v_dual_add_nc_u32 v18, 1, v9
	v_not_b32_e32 v6, v8
	v_not_b32_e32 v16, v9
	v_dual_add_nc_u32 v1, -2, v1 :: v_dual_ashrrev_i32 v19, 31, v12
	s_delay_alu instid0(VALU_DEP_4) | instskip(NEXT) | instid1(VALU_DEP_4)
	v_ashrrev_i32_e32 v20, 31, v18
	v_max_i32_e32 v6, v12, v6
	s_delay_alu instid0(VALU_DEP_3) | instskip(NEXT) | instid1(VALU_DEP_2)
	v_xor_b32_e32 v19, s49, v19
	v_mul_u64_e32 v[10:11], s[10:11], v[6:7]
	s_delay_alu instid0(VALU_DEP_1) | instskip(NEXT) | instid1(VALU_DEP_1)
	v_mul_lo_u32 v10, v11, s79
	v_sub_nc_u32_e32 v10, v6, v10
	v_max_i32_e32 v6, v18, v16
	s_delay_alu instid0(VALU_DEP_2) | instskip(NEXT) | instid1(VALU_DEP_2)
	v_subrev_nc_u32_e32 v22, s79, v10
	v_mul_u64_e32 v[16:17], s[10:11], v[6:7]
	v_cmp_le_u32_e32 vcc_lo, s79, v10
	s_delay_alu instid0(VALU_DEP_3) | instskip(NEXT) | instid1(VALU_DEP_3)
	v_cndmask_b32_e32 v10, v10, v22, vcc_lo
	v_mul_lo_u32 v16, v17, s79
	s_delay_alu instid0(VALU_DEP_1) | instskip(SKIP_1) | instid1(VALU_DEP_2)
	v_dual_add_nc_u32 v21, 1, v11 :: v_dual_sub_nc_u32 v6, v6, v16
	v_add_nc_u32_e32 v16, 1, v17
	v_cmp_le_u32_e64 s0, s79, v6
	v_subrev_nc_u32_e32 v23, s79, v6
	s_delay_alu instid0(VALU_DEP_4) | instskip(SKIP_1) | instid1(VALU_DEP_3)
	v_cndmask_b32_e32 v11, v11, v21, vcc_lo
	v_cmp_le_u32_e32 vcc_lo, s79, v10
	v_dual_cndmask_b32 v16, v17, v16, s0 :: v_dual_cndmask_b32 v6, v6, v23, s0
	s_delay_alu instid0(VALU_DEP_1) | instskip(NEXT) | instid1(VALU_DEP_2)
	v_dual_add_nc_u32 v17, 1, v11 :: v_dual_add_nc_u32 v10, 1, v16
	v_cmp_le_u32_e64 s0, s79, v6
	s_delay_alu instid0(VALU_DEP_2) | instskip(NEXT) | instid1(VALU_DEP_2)
	v_dual_cndmask_b32 v11, v11, v17, vcc_lo :: v_dual_bitop2_b32 v6, s49, v20 bitop3:0x14
	v_cndmask_b32_e64 v10, v16, v10, s0
	s_delay_alu instid0(VALU_DEP_1) | instskip(NEXT) | instid1(VALU_DEP_1)
	v_xor_b32_e32 v10, v10, v6
	v_dual_sub_nc_u32 v6, v10, v6 :: v_dual_bitop2_b32 v11, v11, v19 bitop3:0x14
	s_delay_alu instid0(VALU_DEP_1) | instskip(NEXT) | instid1(VALU_DEP_2)
	v_sub_nc_u32_e32 v11, v11, v19
	v_mul_lo_u32 v16, v6, s99
	s_delay_alu instid0(VALU_DEP_2) | instskip(SKIP_1) | instid1(VALU_DEP_2)
	v_mul_lo_u32 v10, v11, s71
	v_dual_add_nc_u32 v11, s42, v11 :: v_dual_add_nc_u32 v6, s85, v6
	v_dual_sub_nc_u32 v10, v12, v10 :: v_dual_sub_nc_u32 v12, v18, v16
	s_delay_alu instid0(VALU_DEP_1) | instskip(NEXT) | instid1(VALU_DEP_2)
	v_cmp_eq_u32_e32 vcc_lo, 0, v10
	v_cmp_eq_u32_e64 s0, 0, v12
	v_cndmask_b32_e64 v10, v10, s71, vcc_lo
	s_delay_alu instid0(VALU_DEP_2) | instskip(SKIP_2) | instid1(VALU_DEP_3)
	v_cndmask_b32_e64 v12, v12, s99, s0
	v_subrev_co_ci_u32_e64 v11, null, 0, v11, vcc_lo
	v_subrev_co_ci_u32_e64 v6, null, 0, v6, s0
	v_dual_add_nc_u32 v10, s43, v10 :: v_dual_add_nc_u32 v12, s3, v12
	v_cmp_eq_u32_e32 vcc_lo, 0, v1
	s_delay_alu instid0(VALU_DEP_2) | instskip(NEXT) | instid1(VALU_DEP_3)
	v_mad_u32 v10, v11, s94, v10
	v_mad_u32 v6, v6, s48, v12
	s_clause 0x1
	global_load_b32 v12, v10, s[36:37] scale_offset
	global_load_b32 v18, v6, s[36:37] scale_offset
	s_wait_xcnt 0x0
	v_mov_b32_e32 v6, v8
	v_add_nc_u32_e32 v8, 0x200, v8
	s_or_b32 s50, vcc_lo, s50
	s_delay_alu instid0(VALU_DEP_2) | instskip(SKIP_1) | instid1(VALU_DEP_1)
	v_lshl_add_u64 v[10:11], v[6:7], 2, s[40:41]
	v_dual_mov_b32 v6, v9 :: v_dual_add_nc_u32 v9, 0x200, v9
	v_lshl_add_u64 v[16:17], v[6:7], 2, s[40:41]
	s_wait_loadcnt 0x1
	global_store_b32 v[10:11], v12, off
	s_wait_loadcnt 0x0
	global_store_b32 v[16:17], v18, off
	s_wait_xcnt 0x0
	s_and_not1_b32 exec_lo, exec_lo, s50
	s_cbranch_execnz .LBB0_74
; %bb.75:
	s_or_b32 exec_lo, exec_lo, s50
	v_cmp_ne_u32_e32 vcc_lo, v3, v5
	v_lshl_add_u32 v6, v5, 8, v0
	s_mov_b32 s99, s51
	s_or_not1_b32 s0, vcc_lo, exec_lo
.LBB0_76:
	s_or_b32 exec_lo, exec_lo, s95
	s_delay_alu instid0(SALU_CYCLE_1)
	s_and_b32 exec_lo, exec_lo, s0
	s_cbranch_execz .LBB0_79
; %bb.77:
	s_abs_i32 s0, s71
	v_mov_b32_e32 v9, 0
	s_cvt_f32_u32 s3, s0
	s_sub_co_i32 s11, 0, s0
	s_delay_alu instid0(VALU_DEP_1) | instskip(NEXT) | instid1(SALU_CYCLE_1)
	v_mov_b32_e32 v7, v9
	v_rcp_iflag_f32_e32 v1, s3
	s_delay_alu instid0(VALU_DEP_1) | instskip(NEXT) | instid1(TRANS32_DEP_1)
	v_lshl_add_u64 v[10:11], v[6:7], 2, s[40:41]
	v_readfirstlane_b32 s3, v1
	s_mul_f32 s3, s3, 0x4f7ffffe
	s_delay_alu instid0(SALU_CYCLE_3) | instskip(SKIP_1) | instid1(SALU_CYCLE_2)
	s_cvt_u32_f32 s10, s3
	s_ashr_i32 s3, s71, 31
	s_mul_i32 s11, s11, s10
	s_delay_alu instid0(SALU_CYCLE_1)
	s_mul_hi_u32 s48, s10, s11
	s_mov_b32 s11, 0
	s_add_co_i32 s10, s10, s48
	s_mov_b32 s48, s11
.LBB0_78:                               ; =>This Inner Loop Header: Depth=1
	v_add_nc_u32_e32 v1, 1, v6
	v_not_b32_e32 v3, v6
	v_add_nc_u32_e32 v6, 0x100, v6
	s_delay_alu instid0(VALU_DEP_2) | instskip(NEXT) | instid1(VALU_DEP_1)
	v_max_i32_e32 v8, v1, v3
	v_mul_u64_e32 v[16:17], s[10:11], v[8:9]
	s_delay_alu instid0(VALU_DEP_1) | instskip(NEXT) | instid1(VALU_DEP_1)
	v_mul_lo_u32 v3, v17, s0
	v_dual_add_nc_u32 v5, 1, v17 :: v_dual_sub_nc_u32 v3, v8, v3
	s_delay_alu instid0(VALU_DEP_1) | instskip(SKIP_1) | instid1(VALU_DEP_1)
	v_cmp_le_u32_e32 vcc_lo, s0, v3
	v_subrev_nc_u32_e32 v7, s0, v3
	v_dual_cndmask_b32 v5, v17, v5, vcc_lo :: v_dual_cndmask_b32 v3, v3, v7, vcc_lo
	s_delay_alu instid0(VALU_DEP_1) | instskip(NEXT) | instid1(VALU_DEP_2)
	v_add_nc_u32_e32 v8, 1, v5
	v_cmp_le_u32_e32 vcc_lo, s0, v3
	s_delay_alu instid0(VALU_DEP_2) | instskip(NEXT) | instid1(VALU_DEP_1)
	v_dual_ashrrev_i32 v7, 31, v1 :: v_dual_cndmask_b32 v5, v5, v8, vcc_lo
	v_xor_b32_e32 v3, s3, v7
	s_delay_alu instid0(VALU_DEP_1) | instskip(NEXT) | instid1(VALU_DEP_1)
	v_xor_b32_e32 v5, v5, v3
	v_sub_nc_u32_e32 v3, v5, v3
	s_delay_alu instid0(VALU_DEP_1) | instskip(NEXT) | instid1(VALU_DEP_1)
	v_mul_lo_u32 v5, v3, s71
	v_sub_nc_u32_e32 v1, v1, v5
	s_delay_alu instid0(VALU_DEP_1) | instskip(SKIP_1) | instid1(VALU_DEP_1)
	v_cmp_eq_u32_e32 vcc_lo, 0, v1
	v_cndmask_b32_e64 v1, v1, s71, vcc_lo
	v_dual_add_nc_u32 v1, s43, v1 :: v_dual_add_nc_u32 v3, s42, v3
	s_delay_alu instid0(VALU_DEP_1) | instskip(SKIP_1) | instid1(VALU_DEP_2)
	v_subrev_co_ci_u32_e64 v3, null, 0, v3, vcc_lo
	v_cmp_le_i32_e32 vcc_lo, s83, v6
	v_mad_u32 v1, v3, s94, v1
	s_or_b32 s48, vcc_lo, s48
	global_load_b32 v1, v1, s[36:37] scale_offset
	s_wait_loadcnt 0x0
	global_store_b32 v[10:11], v1, off
	s_wait_xcnt 0x0
	v_add_nc_u64_e32 v[10:11], 0x400, v[10:11]
	s_and_not1_b32 exec_lo, exec_lo, s48
	s_cbranch_execnz .LBB0_78
.LBB0_79:
	s_or_b32 exec_lo, exec_lo, s9
	s_mul_i32 s10, s63, s98
	v_cmp_gt_i32_e64 s0, s63, v0
	s_ashr_i32 s11, s10, 31
	v_xad_u32 v12, v0, -1, s63
	s_lshl_b64 s[10:11], s[10:11], 2
	s_wait_storecnt 0x0
	s_add_nc_u64 s[24:25], s[24:25], s[10:11]
	s_barrier_signal -1
	s_barrier_wait -1
	s_and_saveexec_b32 s42, s0
	s_cbranch_execz .LBB0_87
; %bb.80:
	v_readlane_b32 s9, v34, 20
	v_mov_b32_e32 v6, v0
	s_mov_b32 s3, -1
	s_add_co_i32 s95, s99, -2
	s_mov_b32 s79, exec_lo
	s_add_co_i32 s43, s9, -1
	v_cmpx_lt_u32_e32 0xff, v12
	s_cbranch_execz .LBB0_84
; %bb.81:
	s_abs_i32 s85, s104
	v_dual_lshrrev_b32 v3, 8, v12 :: v_dual_mov_b32 v7, 0
	s_cvt_f32_u32 s3, s85
	s_sub_co_i32 s10, 0, s85
	s_mov_b32 s11, 0
	s_delay_alu instid0(VALU_DEP_1)
	v_add_nc_u32_e32 v3, 1, v3
	v_rcp_iflag_f32_e32 v1, s3
	s_mov_b32 s51, s99
	s_mov_b32 s3, s43
	;; [unrolled: 1-line block ×3, first 2 shown]
	v_and_b32_e32 v5, 0x1fffffe, v3
	s_mov_b32 s67, s104
	s_mov_b32 s48, s94
	v_readfirstlane_b32 s9, v1
	v_add_nc_u32_e32 v1, 0x100, v0
	s_ashr_i32 s49, s104, 31
	s_mov_b32 s50, s11
	s_mul_f32 s9, s9, 0x4f7ffffe
	s_delay_alu instid0(VALU_DEP_1) | instskip(SKIP_1) | instid1(SALU_CYCLE_1)
	v_mov_b64_e32 v[8:9], v[0:1]
	v_mov_b32_e32 v1, v5
	s_cvt_u32_f32 s9, s9
	s_delay_alu instid0(SALU_CYCLE_3) | instskip(NEXT) | instid1(SALU_CYCLE_1)
	s_mul_i32 s10, s10, s9
	s_mul_hi_u32 s10, s9, s10
	s_delay_alu instid0(SALU_CYCLE_1)
	s_add_co_i32 s10, s9, s10
.LBB0_82:                               ; =>This Inner Loop Header: Depth=1
	s_delay_alu instid0(VALU_DEP_2) | instskip(SKIP_2) | instid1(VALU_DEP_3)
	v_dual_add_nc_u32 v18, 1, v8 :: v_dual_add_nc_u32 v19, 1, v9
	v_not_b32_e32 v6, v8
	v_not_b32_e32 v16, v9
	v_dual_add_nc_u32 v1, -2, v1 :: v_dual_ashrrev_i32 v21, 31, v19
	s_delay_alu instid0(VALU_DEP_3) | instskip(NEXT) | instid1(VALU_DEP_1)
	v_max_i32_e32 v6, v18, v6
	v_mul_u64_e32 v[10:11], s[10:11], v[6:7]
	s_delay_alu instid0(VALU_DEP_1) | instskip(SKIP_1) | instid1(VALU_DEP_1)
	v_dual_ashrrev_i32 v20, 31, v18 :: v_dual_add_nc_u32 v22, 1, v11
	v_mul_lo_u32 v10, v11, s85
	v_dual_sub_nc_u32 v10, v6, v10 :: v_dual_max_i32 v6, v19, v16
	s_delay_alu instid0(VALU_DEP_1) | instskip(NEXT) | instid1(VALU_DEP_2)
	v_cmp_le_u32_e32 vcc_lo, s85, v10
	v_mul_u64_e32 v[16:17], s[10:11], v[6:7]
	v_xor_b32_e32 v20, s49, v20
	v_subrev_nc_u32_e32 v23, s85, v10
	v_cndmask_b32_e32 v11, v11, v22, vcc_lo
	s_delay_alu instid0(VALU_DEP_4) | instskip(NEXT) | instid1(VALU_DEP_1)
	v_mul_lo_u32 v16, v17, s85
	v_dual_sub_nc_u32 v6, v6, v16 :: v_dual_add_nc_u32 v16, 1, v17
	s_delay_alu instid0(VALU_DEP_1) | instskip(SKIP_1) | instid1(VALU_DEP_2)
	v_cmp_le_u32_e64 s9, s85, v6
	v_subrev_nc_u32_e32 v24, s85, v6
	v_dual_cndmask_b32 v10, v10, v23, vcc_lo :: v_dual_cndmask_b32 v16, v17, v16, s9
	s_delay_alu instid0(VALU_DEP_2) | instskip(NEXT) | instid1(VALU_DEP_2)
	v_dual_cndmask_b32 v6, v6, v24, s9 :: v_dual_add_nc_u32 v17, 1, v11
	v_cmp_le_u32_e32 vcc_lo, s85, v10
	s_delay_alu instid0(VALU_DEP_3) | instskip(NEXT) | instid1(VALU_DEP_3)
	v_add_nc_u32_e32 v10, 1, v16
	v_cmp_le_u32_e64 s9, s85, v6
	v_xor_b32_e32 v6, s49, v21
	s_delay_alu instid0(VALU_DEP_2) | instskip(NEXT) | instid1(VALU_DEP_1)
	v_dual_cndmask_b32 v11, v11, v17, vcc_lo :: v_dual_cndmask_b32 v10, v16, v10, s9
	v_xor_b32_e32 v10, v10, v6
	s_delay_alu instid0(VALU_DEP_1) | instskip(NEXT) | instid1(VALU_DEP_1)
	v_dual_sub_nc_u32 v6, v10, v6 :: v_dual_bitop2_b32 v11, v11, v20 bitop3:0x14
	v_sub_nc_u32_e32 v11, v11, v20
	s_delay_alu instid0(VALU_DEP_2) | instskip(NEXT) | instid1(VALU_DEP_2)
	v_mul_lo_u32 v16, v6, s67
	v_mul_lo_u32 v10, v11, s104
	v_dual_add_nc_u32 v11, s43, v11 :: v_dual_add_nc_u32 v6, s3, v6
	s_delay_alu instid0(VALU_DEP_2) | instskip(NEXT) | instid1(VALU_DEP_1)
	v_dual_sub_nc_u32 v16, v19, v16 :: v_dual_sub_nc_u32 v10, v18, v10
	v_cmp_eq_u32_e64 s9, 0, v16
	s_delay_alu instid0(VALU_DEP_2) | instskip(NEXT) | instid1(VALU_DEP_2)
	v_cmp_eq_u32_e32 vcc_lo, 0, v10
	v_cndmask_b32_e64 v16, v16, s67, s9
	v_cndmask_b32_e64 v10, v10, s104, vcc_lo
	v_subrev_co_ci_u32_e64 v11, null, 0, v11, vcc_lo
	v_subrev_co_ci_u32_e64 v6, null, 0, v6, s9
	s_delay_alu instid0(VALU_DEP_3) | instskip(SKIP_1) | instid1(VALU_DEP_2)
	v_dual_add_nc_u32 v10, s95, v10 :: v_dual_add_nc_u32 v16, s99, v16
	v_cmp_eq_u32_e32 vcc_lo, 0, v1
	v_mad_u32 v10, v11, s94, v10
	s_delay_alu instid0(VALU_DEP_3)
	v_mad_u32 v6, v6, s48, v16
	s_clause 0x1
	global_load_b32 v18, v10, s[36:37] scale_offset
	global_load_b32 v19, v6, s[36:37] scale_offset
	s_wait_xcnt 0x0
	v_mov_b32_e32 v6, v8
	v_add_nc_u32_e32 v8, 0x200, v8
	s_or_b32 s50, vcc_lo, s50
	s_delay_alu instid0(VALU_DEP_2) | instskip(SKIP_1) | instid1(VALU_DEP_1)
	v_lshl_add_u64 v[10:11], v[6:7], 2, s[24:25]
	v_dual_mov_b32 v6, v9 :: v_dual_add_nc_u32 v9, 0x200, v9
	v_lshl_add_u64 v[16:17], v[6:7], 2, s[24:25]
	s_wait_loadcnt 0x1
	global_store_b32 v[10:11], v18, off
	s_wait_loadcnt 0x0
	global_store_b32 v[16:17], v19, off
	s_wait_xcnt 0x0
	s_and_not1_b32 exec_lo, exec_lo, s50
	s_cbranch_execnz .LBB0_82
; %bb.83:
	s_or_b32 exec_lo, exec_lo, s50
	v_cmp_ne_u32_e32 vcc_lo, v3, v5
	v_lshl_add_u32 v6, v5, 8, v0
	s_mov_b32 s99, s51
	s_or_not1_b32 s3, vcc_lo, exec_lo
.LBB0_84:
	s_or_b32 exec_lo, exec_lo, s79
	s_delay_alu instid0(SALU_CYCLE_1)
	s_and_b32 exec_lo, exec_lo, s3
	s_cbranch_execz .LBB0_87
; %bb.85:
	s_abs_i32 s3, s104
	v_mov_b32_e32 v9, 0
	s_cvt_f32_u32 s9, s3
	s_sub_co_i32 s11, 0, s3
	s_delay_alu instid0(VALU_DEP_1) | instskip(NEXT) | instid1(SALU_CYCLE_1)
	v_mov_b32_e32 v7, v9
	v_rcp_iflag_f32_e32 v1, s9
	s_delay_alu instid0(VALU_DEP_1) | instskip(NEXT) | instid1(TRANS32_DEP_1)
	v_lshl_add_u64 v[10:11], v[6:7], 2, s[24:25]
	v_readfirstlane_b32 s9, v1
	s_mul_f32 s9, s9, 0x4f7ffffe
	s_delay_alu instid0(SALU_CYCLE_3) | instskip(SKIP_1) | instid1(SALU_CYCLE_2)
	s_cvt_u32_f32 s10, s9
	s_ashr_i32 s9, s104, 31
	s_mul_i32 s11, s11, s10
	s_delay_alu instid0(SALU_CYCLE_1)
	s_mul_hi_u32 s48, s10, s11
	s_mov_b32 s11, 0
	s_add_co_i32 s10, s10, s48
	s_mov_b32 s48, s11
.LBB0_86:                               ; =>This Inner Loop Header: Depth=1
	v_add_nc_u32_e32 v1, 1, v6
	v_not_b32_e32 v3, v6
	v_add_nc_u32_e32 v6, 0x100, v6
	s_delay_alu instid0(VALU_DEP_2) | instskip(NEXT) | instid1(VALU_DEP_1)
	v_max_i32_e32 v8, v1, v3
	v_mul_u64_e32 v[16:17], s[10:11], v[8:9]
	s_delay_alu instid0(VALU_DEP_1) | instskip(NEXT) | instid1(VALU_DEP_1)
	v_mul_lo_u32 v3, v17, s3
	v_dual_add_nc_u32 v5, 1, v17 :: v_dual_sub_nc_u32 v3, v8, v3
	s_delay_alu instid0(VALU_DEP_1) | instskip(SKIP_1) | instid1(VALU_DEP_1)
	v_cmp_le_u32_e32 vcc_lo, s3, v3
	v_subrev_nc_u32_e32 v7, s3, v3
	v_dual_cndmask_b32 v5, v17, v5, vcc_lo :: v_dual_cndmask_b32 v3, v3, v7, vcc_lo
	s_delay_alu instid0(VALU_DEP_1) | instskip(NEXT) | instid1(VALU_DEP_2)
	v_add_nc_u32_e32 v8, 1, v5
	v_cmp_le_u32_e32 vcc_lo, s3, v3
	s_delay_alu instid0(VALU_DEP_2) | instskip(NEXT) | instid1(VALU_DEP_1)
	v_dual_ashrrev_i32 v7, 31, v1 :: v_dual_cndmask_b32 v5, v5, v8, vcc_lo
	v_xor_b32_e32 v3, s9, v7
	s_delay_alu instid0(VALU_DEP_1) | instskip(NEXT) | instid1(VALU_DEP_1)
	v_xor_b32_e32 v5, v5, v3
	v_sub_nc_u32_e32 v3, v5, v3
	s_delay_alu instid0(VALU_DEP_1) | instskip(NEXT) | instid1(VALU_DEP_1)
	v_mul_lo_u32 v5, v3, s104
	v_sub_nc_u32_e32 v1, v1, v5
	s_delay_alu instid0(VALU_DEP_1) | instskip(SKIP_1) | instid1(VALU_DEP_1)
	v_cmp_eq_u32_e32 vcc_lo, 0, v1
	v_cndmask_b32_e64 v1, v1, s104, vcc_lo
	v_dual_add_nc_u32 v1, s95, v1 :: v_dual_add_nc_u32 v3, s43, v3
	s_delay_alu instid0(VALU_DEP_1) | instskip(SKIP_1) | instid1(VALU_DEP_2)
	v_subrev_co_ci_u32_e64 v3, null, 0, v3, vcc_lo
	v_cmp_le_i32_e32 vcc_lo, s63, v6
	v_mad_u32 v1, v3, s94, v1
	s_or_b32 s48, vcc_lo, s48
	global_load_b32 v1, v1, s[36:37] scale_offset
	s_wait_loadcnt 0x0
	global_store_b32 v[10:11], v1, off
	s_wait_xcnt 0x0
	v_add_nc_u64_e32 v[10:11], 0x400, v[10:11]
	s_and_not1_b32 exec_lo, exec_lo, s48
	s_cbranch_execnz .LBB0_86
.LBB0_87:
	s_or_b32 exec_lo, exec_lo, s42
	s_wait_storecnt 0x0
	s_barrier_signal -1
	s_barrier_wait -1
	s_and_saveexec_b32 s9, s0
	s_cbranch_execz .LBB0_95
; %bb.88:
	v_mov_b32_e32 v6, v0
	s_mov_b32 s10, -1
	s_mov_b32 s3, exec_lo
	v_cmpx_lt_u32_e32 0x2ff, v12
	s_cbranch_execz .LBB0_92
; %bb.89:
	v_dual_lshrrev_b32 v1, 8, v12 :: v_dual_mov_b32 v7, 0
	s_mov_b32 s10, 0
	s_delay_alu instid0(VALU_DEP_1) | instskip(SKIP_1) | instid1(VALU_DEP_2)
	v_add_nc_u32_e32 v3, 1, v1
	v_add_nc_u32_e32 v1, 0x100, v0
	v_and_b32_e32 v5, 0x1fffffc, v3
	s_delay_alu instid0(VALU_DEP_2) | instskip(NEXT) | instid1(VALU_DEP_2)
	v_mov_b64_e32 v[8:9], v[0:1]
	v_mov_b32_e32 v10, v5
.LBB0_90:                               ; =>This Inner Loop Header: Depth=1
	s_delay_alu instid0(VALU_DEP_2) | instskip(NEXT) | instid1(VALU_DEP_3)
	v_dual_mov_b32 v6, v8 :: v_dual_mov_b32 v17, v7
	v_dual_mov_b32 v19, v7 :: v_dual_add_nc_u32 v16, 0x200, v9
	v_add_nc_u32_e32 v18, 0x200, v8
	s_delay_alu instid0(VALU_DEP_3) | instskip(SKIP_1) | instid1(VALU_DEP_4)
	v_lshlrev_b64_e32 v[20:21], 2, v[6:7]
	v_dual_mov_b32 v6, v9 :: v_dual_add_nc_u32 v10, -4, v10
	v_lshlrev_b64_e32 v[16:17], 2, v[16:17]
	s_delay_alu instid0(VALU_DEP_4) | instskip(SKIP_1) | instid1(VALU_DEP_4)
	v_lshlrev_b64_e32 v[18:19], 2, v[18:19]
	v_add_nc_u32_e32 v8, 0x400, v8
	v_lshlrev_b64_e32 v[22:23], 2, v[6:7]
	v_add_nc_u64_e32 v[24:25], s[40:41], v[20:21]
	v_add_nc_u64_e32 v[20:21], s[24:25], v[20:21]
	v_cmp_eq_u32_e32 vcc_lo, 0, v10
	v_add_nc_u64_e32 v[28:29], s[40:41], v[16:17]
	v_add_nc_u64_e32 v[26:27], s[40:41], v[18:19]
	;; [unrolled: 1-line block ×6, first 2 shown]
	global_load_b32 v32, v[20:21], off
	s_clause 0x2
	global_load_b32 v24, v[24:25], off
	global_load_b32 v26, v[26:27], off
	global_load_b32 v27, v[28:29], off
	s_clause 0x1
	global_load_b32 v28, v[18:19], off
	global_load_b32 v29, v[16:17], off
	;; [unrolled: 1-line block ×4, first 2 shown]
	v_add_nc_u32_e32 v9, 0x400, v9
	s_or_b32 s10, vcc_lo, s10
	s_wait_loadcnt 0x2
	v_pk_add_f32 v[26:27], v[26:27], v[28:29] neg_lo:[0,1] neg_hi:[0,1]
	s_wait_loadcnt 0x0
	v_pk_add_f32 v[24:25], v[24:25], v[32:33] neg_lo:[0,1] neg_hi:[0,1]
	s_clause 0x3
	global_store_b32 v[20:21], v24, off
	global_store_b32 v[22:23], v25, off
	;; [unrolled: 1-line block ×4, first 2 shown]
	s_wait_xcnt 0x0
	s_and_not1_b32 exec_lo, exec_lo, s10
	s_cbranch_execnz .LBB0_90
; %bb.91:
	s_or_b32 exec_lo, exec_lo, s10
	v_cmp_ne_u32_e32 vcc_lo, v3, v5
	v_lshl_or_b32 v6, v5, 8, v0
	s_or_not1_b32 s10, vcc_lo, exec_lo
.LBB0_92:
	s_or_b32 exec_lo, exec_lo, s3
	s_delay_alu instid0(SALU_CYCLE_1)
	s_and_b32 exec_lo, exec_lo, s10
	s_cbranch_execz .LBB0_95
; %bb.93:
	v_mov_b32_e32 v7, 0
	s_mov_b32 s3, 0
	s_delay_alu instid0(VALU_DEP_1) | instskip(NEXT) | instid1(VALU_DEP_1)
	v_lshlrev_b64_e32 v[10:11], 2, v[6:7]
	v_add_nc_u64_e32 v[8:9], s[40:41], v[10:11]
	v_add_nc_u64_e32 v[10:11], s[24:25], v[10:11]
.LBB0_94:                               ; =>This Inner Loop Header: Depth=1
	global_load_b32 v1, v[8:9], off
	global_load_b32 v3, v[10:11], off
	v_add_nc_u32_e32 v6, 0x100, v6
	s_wait_xcnt 0x1
	v_add_nc_u64_e32 v[8:9], 0x400, v[8:9]
	s_wait_loadcnt 0x0
	v_sub_f32_e32 v1, v1, v3
	v_cmp_le_i32_e32 vcc_lo, s63, v6
	global_store_b32 v[10:11], v1, off
	s_wait_xcnt 0x0
	v_add_nc_u64_e32 v[10:11], 0x400, v[10:11]
	s_or_b32 s3, vcc_lo, s3
	s_delay_alu instid0(SALU_CYCLE_1)
	s_and_not1_b32 exec_lo, exec_lo, s3
	s_cbranch_execnz .LBB0_94
.LBB0_95:
	s_or_b32 exec_lo, exec_lo, s9
	s_mul_i32 s10, s82, s98
	s_mov_b32 s3, exec_lo
	s_ashr_i32 s11, s10, 31
	s_wait_storecnt 0x0
	s_lshl_b64 s[10:11], s[10:11], 2
	s_barrier_signal -1
	s_add_nc_u64 s[26:27], s[26:27], s[10:11]
	s_barrier_wait -1
	v_cmpx_gt_i32_e64 s82, v0
	s_cbranch_execz .LBB0_103
; %bb.96:
	v_xad_u32 v1, v0, -1, s82
	v_mov_b32_e32 v6, v0
	s_mov_b32 s10, -1
	s_mov_b32 s9, exec_lo
	s_delay_alu instid0(VALU_DEP_2)
	v_cmpx_lt_u32_e32 0xff, v1
	s_cbranch_execz .LBB0_100
; %bb.97:
	v_dual_lshrrev_b32 v1, 8, v1 :: v_dual_mov_b32 v7, 0
	s_mov_b32 s10, 0
	s_delay_alu instid0(VALU_DEP_1) | instskip(SKIP_1) | instid1(VALU_DEP_2)
	v_add_nc_u32_e32 v3, 1, v1
	v_add_nc_u32_e32 v1, 0x100, v0
	v_and_b32_e32 v5, 0x1fffffe, v3
	s_delay_alu instid0(VALU_DEP_2) | instskip(NEXT) | instid1(VALU_DEP_2)
	v_mov_b64_e32 v[8:9], v[0:1]
	v_mov_b32_e32 v10, v5
.LBB0_98:                               ; =>This Inner Loop Header: Depth=1
	s_delay_alu instid0(VALU_DEP_1) | instskip(SKIP_1) | instid1(VALU_DEP_2)
	v_dual_mov_b32 v6, v8 :: v_dual_add_nc_u32 v10, -2, v10
	v_add_nc_u32_e32 v8, 0x200, v8
	v_lshlrev_b64_e32 v[16:17], 2, v[6:7]
	v_dual_mov_b32 v6, v9 :: v_dual_add_nc_u32 v9, 0x200, v9
	s_delay_alu instid0(VALU_DEP_4) | instskip(NEXT) | instid1(VALU_DEP_2)
	v_cmp_eq_u32_e32 vcc_lo, 0, v10
	v_lshlrev_b64_e32 v[18:19], 2, v[6:7]
	s_delay_alu instid0(VALU_DEP_4) | instskip(SKIP_2) | instid1(VALU_DEP_3)
	v_add_nc_u64_e32 v[20:21], s[96:97], v[16:17]
	v_add_nc_u64_e32 v[16:17], s[26:27], v[16:17]
	s_or_b32 s10, vcc_lo, s10
	v_add_nc_u64_e32 v[22:23], s[96:97], v[18:19]
	v_add_nc_u64_e32 v[18:19], s[26:27], v[18:19]
	s_clause 0x1
	global_load_b32 v20, v[20:21], off
	global_load_b32 v21, v[22:23], off
	s_wait_loadcnt 0x0
	v_pk_mul_f32 v[20:21], v[20:21], v[20:21]
	s_clause 0x1
	global_store_b32 v[16:17], v20, off
	global_store_b32 v[18:19], v21, off
	s_wait_xcnt 0x0
	s_and_not1_b32 exec_lo, exec_lo, s10
	s_cbranch_execnz .LBB0_98
; %bb.99:
	s_or_b32 exec_lo, exec_lo, s10
	v_cmp_ne_u32_e32 vcc_lo, v3, v5
	v_lshl_add_u32 v6, v5, 8, v0
	s_or_not1_b32 s10, vcc_lo, exec_lo
.LBB0_100:
	s_or_b32 exec_lo, exec_lo, s9
	s_delay_alu instid0(SALU_CYCLE_1)
	s_and_b32 exec_lo, exec_lo, s10
	s_cbranch_execz .LBB0_103
; %bb.101:
	v_mov_b32_e32 v7, 0
	s_mov_b32 s9, 0
	s_delay_alu instid0(VALU_DEP_1) | instskip(NEXT) | instid1(VALU_DEP_1)
	v_lshlrev_b64_e32 v[10:11], 2, v[6:7]
	v_add_nc_u64_e32 v[8:9], s[96:97], v[10:11]
	v_add_nc_u64_e32 v[10:11], s[26:27], v[10:11]
.LBB0_102:                              ; =>This Inner Loop Header: Depth=1
	global_load_b32 v1, v[8:9], off
	v_add_nc_u32_e32 v6, 0x100, v6
	s_wait_xcnt 0x0
	v_add_nc_u64_e32 v[8:9], 0x400, v[8:9]
	s_wait_loadcnt 0x0
	v_mul_f32_e32 v1, v1, v1
	v_cmp_le_i32_e32 vcc_lo, s82, v6
	global_store_b32 v[10:11], v1, off
	s_wait_xcnt 0x0
	v_add_nc_u64_e32 v[10:11], 0x400, v[10:11]
	s_or_b32 s9, vcc_lo, s9
	s_delay_alu instid0(SALU_CYCLE_1)
	s_and_not1_b32 exec_lo, exec_lo, s9
	s_cbranch_execnz .LBB0_102
.LBB0_103:
	s_or_b32 exec_lo, exec_lo, s3
	s_wait_storecnt 0x0
	s_barrier_signal -1
	s_barrier_wait -1
	s_and_saveexec_b32 s3, s4
	s_cbranch_execz .LBB0_108
; %bb.104:
	s_abs_i32 s11, s76
	v_mov_b32_e32 v7, 0
	s_cvt_f32_u32 s4, s11
	s_sub_co_i32 s9, 0, s11
	s_mov_b32 s43, 0
	s_add_co_i32 s48, s80, s54
	v_rcp_iflag_f32_e32 v1, s4
	s_add_co_i32 s49, s81, s55
	s_not_b32 s50, s54
	s_ashr_i32 s51, s76, 31
	s_mov_b32 s67, s43
	v_nop
	s_delay_alu instid0(TRANS32_DEP_1) | instskip(SKIP_2) | instid1(VALU_DEP_1)
	v_readfirstlane_b32 s4, v1
	v_dual_mov_b32 v1, v0 :: v_dual_mov_b32 v3, v7
	s_mul_f32 s4, s4, 0x4f7ffffe
	v_add_nc_u64_e32 v[8:9], s[52:53], v[2:3]
	s_delay_alu instid0(SALU_CYCLE_2) | instskip(NEXT) | instid1(SALU_CYCLE_3)
	s_cvt_u32_f32 s4, s4
	s_mul_i32 s9, s9, s4
	s_delay_alu instid0(SALU_CYCLE_1) | instskip(NEXT) | instid1(SALU_CYCLE_1)
	s_mul_hi_u32 s9, s4, s9
	s_add_co_i32 s42, s4, s9
	s_branch .LBB0_106
.LBB0_105:                              ;   in Loop: Header=BB0_106 Depth=1
	s_wait_xcnt 0x0
	s_or_b32 exec_lo, exec_lo, s4
	v_add_nc_u32_e32 v1, 0x100, v1
	s_wait_loadcnt 0x0
	global_store_b32 v[8:9], v6, off
	s_wait_xcnt 0x0
	v_add_nc_u64_e32 v[8:9], 0x400, v[8:9]
	v_cmp_le_i32_e32 vcc_lo, s78, v1
	s_or_b32 s67, vcc_lo, s67
	s_delay_alu instid0(SALU_CYCLE_1)
	s_and_not1_b32 exec_lo, exec_lo, s67
	s_cbranch_execz .LBB0_108
.LBB0_106:                              ; =>This Inner Loop Header: Depth=1
	v_add_nc_u32_e32 v3, 1, v1
	v_not_b32_e32 v5, v1
	s_delay_alu instid0(VALU_DEP_1) | instskip(NEXT) | instid1(VALU_DEP_1)
	v_max_i32_e32 v6, v3, v5
	v_mul_u64_e32 v[10:11], s[42:43], v[6:7]
	s_delay_alu instid0(VALU_DEP_1) | instskip(NEXT) | instid1(VALU_DEP_1)
	v_mul_lo_u32 v5, v11, s11
	v_dual_sub_nc_u32 v5, v6, v5 :: v_dual_add_nc_u32 v6, 1, v11
	s_delay_alu instid0(VALU_DEP_1) | instskip(NEXT) | instid1(VALU_DEP_2)
	v_cmp_le_u32_e32 vcc_lo, s11, v5
	v_cndmask_b32_e32 v6, v11, v6, vcc_lo
	v_subrev_nc_u32_e32 v10, s11, v5
	s_delay_alu instid0(VALU_DEP_2) | instskip(NEXT) | instid1(VALU_DEP_2)
	v_add_nc_u32_e32 v11, 1, v6
	v_dual_cndmask_b32 v5, v5, v10 :: v_dual_ashrrev_i32 v10, 31, v3
	s_delay_alu instid0(VALU_DEP_1) | instskip(NEXT) | instid1(VALU_DEP_2)
	v_cmp_le_u32_e32 vcc_lo, s11, v5
	v_dual_cndmask_b32 v5, v6, v11, vcc_lo :: v_dual_bitop2_b32 v10, s51, v10 bitop3:0x14
	s_delay_alu instid0(VALU_DEP_1) | instskip(NEXT) | instid1(VALU_DEP_1)
	v_xor_b32_e32 v6, v5, v10
	v_sub_nc_u32_e32 v5, v6, v10
	s_delay_alu instid0(VALU_DEP_1) | instskip(NEXT) | instid1(VALU_DEP_1)
	v_mul_lo_u32 v5, v5, s76
	v_sub_nc_u32_e32 v3, v3, v5
	s_delay_alu instid0(VALU_DEP_1) | instskip(SKIP_3) | instid1(VALU_DEP_3)
	v_cmp_eq_u32_e32 vcc_lo, 0, v3
	v_cndmask_b32_e64 v5, v3, s76, vcc_lo
	v_sub_co_ci_u32_e64 v3, null, v6, v10, vcc_lo
	v_mov_b32_e32 v6, 0
	v_cmp_lt_i32_e32 vcc_lo, s54, v5
	v_cmp_ge_i32_e64 s4, s48, v5
	s_delay_alu instid0(VALU_DEP_4) | instskip(SKIP_2) | instid1(SALU_CYCLE_1)
	v_cmp_le_i32_e64 s9, s55, v3
	v_cmp_gt_i32_e64 s10, s49, v3
	s_and_b32 s4, vcc_lo, s4
	s_and_b32 s4, s4, s9
	s_delay_alu instid0(SALU_CYCLE_1) | instskip(NEXT) | instid1(SALU_CYCLE_1)
	s_and_b32 s9, s4, s10
	s_and_saveexec_b32 s4, s9
	s_cbranch_execz .LBB0_105
; %bb.107:                              ;   in Loop: Header=BB0_106 Depth=1
	v_add_nc_u32_e32 v5, s50, v5
	v_subrev_nc_u32_e32 v3, s55, v3
	s_delay_alu instid0(VALU_DEP_1)
	v_mad_u32 v3, v3, s80, v5
	global_load_b32 v6, v3, s[26:27] scale_offset
	s_branch .LBB0_105
.LBB0_108:
	s_or_b32 exec_lo, exec_lo, s3
	s_wait_storecnt 0x0
	s_barrier_signal -1
	s_barrier_wait -1
	s_and_saveexec_b32 s3, s5
	s_cbranch_execz .LBB0_115
; %bb.109:
	v_dual_mov_b32 v5, 0 :: v_dual_mov_b32 v1, v0
	s_cmp_gt_i32 s76, 0
	s_mov_b32 s5, 0
	s_cselect_b32 s4, -1, 0
	s_lshl_b32 s9, s76, 8
	s_branch .LBB0_111
.LBB0_110:                              ;   in Loop: Header=BB0_111 Depth=1
	v_add_nc_u32_e32 v1, 0x100, v1
	v_add_nc_u32_e32 v4, s9, v4
	s_delay_alu instid0(VALU_DEP_2) | instskip(SKIP_1) | instid1(SALU_CYCLE_1)
	v_cmp_le_i32_e32 vcc_lo, s77, v1
	s_or_b32 s5, vcc_lo, s5
	s_and_not1_b32 exec_lo, exec_lo, s5
	s_cbranch_execz .LBB0_115
.LBB0_111:                              ; =>This Loop Header: Depth=1
                                        ;     Child Loop BB0_113 Depth 2
	s_and_not1_b32 vcc_lo, exec_lo, s4
	s_cbranch_vccnz .LBB0_110
; %bb.112:                              ;   in Loop: Header=BB0_111 Depth=1
	v_mul_lo_u32 v3, v1, s76
	v_lshl_add_u64 v[6:7], v[4:5], 2, s[52:53]
	s_mov_b32 s10, 0
	s_delay_alu instid0(VALU_DEP_2)
	v_dual_mov_b32 v9, 0 :: v_dual_add_nc_u32 v8, s76, v3
.LBB0_113:                              ;   Parent Loop BB0_111 Depth=1
                                        ; =>  This Inner Loop Header: Depth=2
	global_load_b32 v10, v[6:7], off
	s_wait_loadcnt 0x0
	v_dual_add_nc_u32 v3, 1, v3 :: v_dual_add_f32 v9, v9, v10
	s_delay_alu instid0(VALU_DEP_1) | instskip(SKIP_4) | instid1(SALU_CYCLE_1)
	v_cmp_ge_i32_e32 vcc_lo, v3, v8
	global_store_b32 v[6:7], v9, off
	s_wait_xcnt 0x0
	v_add_nc_u64_e32 v[6:7], 4, v[6:7]
	s_or_b32 s10, vcc_lo, s10
	s_and_not1_b32 exec_lo, exec_lo, s10
	s_cbranch_execnz .LBB0_113
; %bb.114:                              ;   in Loop: Header=BB0_111 Depth=1
	s_or_b32 exec_lo, exec_lo, s10
	s_branch .LBB0_110
.LBB0_115:
	s_or_b32 exec_lo, exec_lo, s3
	s_wait_storecnt 0x0
	s_barrier_signal -1
	s_barrier_wait -1
	s_and_saveexec_b32 s9, s6
	s_cbranch_execz .LBB0_123
; %bb.116:
	v_mov_b32_e32 v4, v0
	s_mov_b32 s3, -1
	s_add_co_i32 s6, s75, -1
	s_add_co_i32 s26, s47, -2
	s_mov_b32 s5, exec_lo
	v_cmpx_lt_u32_e32 0xff, v14
	s_cbranch_execz .LBB0_120
; %bb.117:
	s_abs_i32 s27, s2
	v_dual_lshrrev_b32 v3, 8, v14 :: v_dual_mov_b32 v5, 0
	s_cvt_f32_u32 s3, s27
	s_sub_co_i32 s10, 0, s27
	s_mov_b32 s11, 0
	s_delay_alu instid0(VALU_DEP_1)
	v_add_nc_u32_e32 v3, 1, v3
	v_rcp_iflag_f32_e32 v1, s3
	s_mov_b32 s3, s6
	s_mov_b32 s42, s26
	;; [unrolled: 1-line block ×3, first 2 shown]
	v_and_b32_e32 v8, 0x1fffffe, v3
	s_mov_b32 s47, s76
	s_ashr_i32 s48, s2, 31
	v_readfirstlane_b32 s4, v1
	v_add_nc_u32_e32 v1, 0x100, v0
	s_mov_b32 s49, s11
	s_mul_f32 s4, s4, 0x4f7ffffe
	s_delay_alu instid0(VALU_DEP_1) | instskip(SKIP_1) | instid1(SALU_CYCLE_1)
	v_mov_b64_e32 v[6:7], v[0:1]
	v_mov_b32_e32 v1, v8
	s_cvt_u32_f32 s4, s4
	s_delay_alu instid0(SALU_CYCLE_3) | instskip(NEXT) | instid1(SALU_CYCLE_1)
	s_mul_i32 s10, s10, s4
	s_mul_hi_u32 s10, s4, s10
	s_delay_alu instid0(SALU_CYCLE_1)
	s_add_co_i32 s10, s4, s10
.LBB0_118:                              ; =>This Inner Loop Header: Depth=1
	s_delay_alu instid0(VALU_DEP_2) | instskip(SKIP_3) | instid1(VALU_DEP_3)
	v_dual_add_nc_u32 v9, 1, v6 :: v_dual_add_nc_u32 v14, 1, v7
	v_not_b32_e32 v4, v6
	v_not_b32_e32 v16, v7
	v_add_nc_u32_e32 v1, -2, v1
	v_dual_ashrrev_i32 v18, 31, v9 :: v_dual_max_i32 v4, v9, v4
	s_delay_alu instid0(VALU_DEP_1) | instskip(NEXT) | instid1(VALU_DEP_1)
	v_mul_u64_e32 v[10:11], s[10:11], v[4:5]
	v_dual_ashrrev_i32 v19, 31, v14 :: v_dual_add_nc_u32 v20, 1, v11
	v_mul_lo_u32 v10, v11, s27
	s_delay_alu instid0(VALU_DEP_1) | instskip(NEXT) | instid1(VALU_DEP_1)
	v_dual_sub_nc_u32 v10, v4, v10 :: v_dual_max_i32 v4, v14, v16
	v_subrev_nc_u32_e32 v21, s27, v10
	s_delay_alu instid0(VALU_DEP_2) | instskip(SKIP_2) | instid1(VALU_DEP_3)
	v_mul_u64_e32 v[16:17], s[10:11], v[4:5]
	v_cmp_le_u32_e32 vcc_lo, s27, v10
	v_cndmask_b32_e32 v11, v11, v20, vcc_lo
	v_mul_lo_u32 v16, v17, s27
	s_delay_alu instid0(VALU_DEP_1) | instskip(SKIP_1) | instid1(VALU_DEP_2)
	v_dual_sub_nc_u32 v4, v4, v16 :: v_dual_bitop2_b32 v18, s48, v18 bitop3:0x14
	v_add_nc_u32_e32 v16, 1, v17
	v_cmp_le_u32_e64 s4, s27, v4
	v_subrev_nc_u32_e32 v22, s27, v4
	s_delay_alu instid0(VALU_DEP_2) | instskip(NEXT) | instid1(VALU_DEP_2)
	v_dual_cndmask_b32 v10, v10, v21, vcc_lo :: v_dual_cndmask_b32 v16, v17, v16, s4
	v_dual_cndmask_b32 v4, v4, v22, s4 :: v_dual_add_nc_u32 v17, 1, v11
	s_delay_alu instid0(VALU_DEP_2) | instskip(NEXT) | instid1(VALU_DEP_3)
	v_cmp_le_u32_e32 vcc_lo, s27, v10
	v_add_nc_u32_e32 v10, 1, v16
	s_delay_alu instid0(VALU_DEP_3) | instskip(NEXT) | instid1(VALU_DEP_4)
	v_cmp_le_u32_e64 s4, s27, v4
	v_dual_cndmask_b32 v11, v11, v17, vcc_lo :: v_dual_bitop2_b32 v4, s48, v19 bitop3:0x14
	s_delay_alu instid0(VALU_DEP_2) | instskip(NEXT) | instid1(VALU_DEP_1)
	v_cndmask_b32_e64 v10, v16, v10, s4
	v_xor_b32_e32 v10, v10, v4
	s_delay_alu instid0(VALU_DEP_1) | instskip(NEXT) | instid1(VALU_DEP_1)
	v_dual_sub_nc_u32 v4, v10, v4 :: v_dual_bitop2_b32 v11, v11, v18 bitop3:0x14
	v_sub_nc_u32_e32 v11, v11, v18
	s_delay_alu instid0(VALU_DEP_2) | instskip(NEXT) | instid1(VALU_DEP_2)
	v_mul_lo_u32 v16, v4, s43
	v_mul_lo_u32 v10, v11, s2
	v_dual_add_nc_u32 v11, s6, v11 :: v_dual_add_nc_u32 v4, s3, v4
	s_delay_alu instid0(VALU_DEP_2) | instskip(NEXT) | instid1(VALU_DEP_1)
	v_dual_sub_nc_u32 v9, v9, v10 :: v_dual_sub_nc_u32 v10, v14, v16
	v_cmp_eq_u32_e32 vcc_lo, 0, v9
	s_delay_alu instid0(VALU_DEP_2) | instskip(SKIP_1) | instid1(VALU_DEP_2)
	v_cmp_eq_u32_e64 s4, 0, v10
	v_cndmask_b32_e64 v9, v9, s2, vcc_lo
	v_cndmask_b32_e64 v10, v10, s43, s4
	v_subrev_co_ci_u32_e64 v11, null, 0, v11, vcc_lo
	v_subrev_co_ci_u32_e64 v4, null, 0, v4, s4
	s_delay_alu instid0(VALU_DEP_3) | instskip(SKIP_1) | instid1(VALU_DEP_2)
	v_dual_add_nc_u32 v9, s26, v9 :: v_dual_add_nc_u32 v10, s42, v10
	v_cmp_eq_u32_e32 vcc_lo, 0, v1
	v_mad_u32 v9, v11, s76, v9
	s_delay_alu instid0(VALU_DEP_3)
	v_mad_u32 v4, v4, s47, v10
	s_clause 0x1
	global_load_b32 v9, v9, s[52:53] scale_offset
	global_load_b32 v14, v4, s[52:53] scale_offset
	s_wait_xcnt 0x0
	v_mov_b32_e32 v4, v6
	v_add_nc_u32_e32 v6, 0x200, v6
	s_or_b32 s49, vcc_lo, s49
	s_delay_alu instid0(VALU_DEP_2) | instskip(SKIP_1) | instid1(VALU_DEP_1)
	v_lshl_add_u64 v[10:11], v[4:5], 2, s[38:39]
	v_dual_mov_b32 v4, v7 :: v_dual_add_nc_u32 v7, 0x200, v7
	v_lshl_add_u64 v[16:17], v[4:5], 2, s[38:39]
	s_wait_loadcnt 0x1
	global_store_b32 v[10:11], v9, off
	s_wait_loadcnt 0x0
	global_store_b32 v[16:17], v14, off
	s_wait_xcnt 0x0
	s_and_not1_b32 exec_lo, exec_lo, s49
	s_cbranch_execnz .LBB0_118
; %bb.119:
	s_or_b32 exec_lo, exec_lo, s49
	v_cmp_ne_u32_e32 vcc_lo, v3, v8
	v_lshl_add_u32 v4, v8, 8, v0
	s_or_not1_b32 s3, vcc_lo, exec_lo
.LBB0_120:
	s_or_b32 exec_lo, exec_lo, s5
	s_delay_alu instid0(SALU_CYCLE_1)
	s_and_b32 exec_lo, exec_lo, s3
	s_cbranch_execz .LBB0_123
; %bb.121:
	s_abs_i32 s3, s2
	v_mov_b32_e32 v7, 0
	s_cvt_f32_u32 s4, s3
	s_sub_co_i32 s5, 0, s3
	s_ashr_i32 s10, s2, 31
	s_delay_alu instid0(VALU_DEP_1) | instskip(SKIP_1) | instid1(VALU_DEP_1)
	v_mov_b32_e32 v5, v7
	v_rcp_iflag_f32_e32 v1, s4
	v_lshl_add_u64 v[8:9], v[4:5], 2, s[38:39]
	s_delay_alu instid0(TRANS32_DEP_1) | instskip(SKIP_1) | instid1(SALU_CYCLE_3)
	v_readfirstlane_b32 s4, v1
	s_mul_f32 s4, s4, 0x4f7ffffe
	s_cvt_u32_f32 s4, s4
	s_delay_alu instid0(SALU_CYCLE_3) | instskip(NEXT) | instid1(SALU_CYCLE_1)
	s_mul_i32 s5, s5, s4
	s_mul_hi_u32 s11, s4, s5
	s_mov_b32 s5, 0
	s_add_co_i32 s4, s4, s11
	s_mov_b32 s11, s5
.LBB0_122:                              ; =>This Inner Loop Header: Depth=1
	v_add_nc_u32_e32 v1, 1, v4
	v_not_b32_e32 v3, v4
	v_add_nc_u32_e32 v4, 0x100, v4
	s_delay_alu instid0(VALU_DEP_2) | instskip(NEXT) | instid1(VALU_DEP_1)
	v_max_i32_e32 v6, v1, v3
	v_mul_u64_e32 v[10:11], s[4:5], v[6:7]
	s_delay_alu instid0(VALU_DEP_1) | instskip(SKIP_1) | instid1(VALU_DEP_1)
	v_mul_lo_u32 v3, v11, s3
	v_dual_add_nc_u32 v5, 1, v11 :: v_dual_ashrrev_i32 v10, 31, v1
	v_dual_sub_nc_u32 v3, v6, v3 :: v_dual_bitop2_b32 v10, s10, v10 bitop3:0x14
	s_delay_alu instid0(VALU_DEP_1) | instskip(SKIP_1) | instid1(VALU_DEP_4)
	v_subrev_nc_u32_e32 v6, s3, v3
	v_cmp_le_u32_e32 vcc_lo, s3, v3
	v_cndmask_b32_e32 v5, v11, v5, vcc_lo
	s_delay_alu instid0(VALU_DEP_1) | instskip(NEXT) | instid1(VALU_DEP_1)
	v_dual_cndmask_b32 v3, v3, v6 :: v_dual_add_nc_u32 v6, 1, v5
	v_cmp_le_u32_e32 vcc_lo, s3, v3
	s_delay_alu instid0(VALU_DEP_2) | instskip(NEXT) | instid1(VALU_DEP_1)
	v_cndmask_b32_e32 v3, v5, v6, vcc_lo
	v_xor_b32_e32 v3, v3, v10
	s_delay_alu instid0(VALU_DEP_1) | instskip(NEXT) | instid1(VALU_DEP_1)
	v_sub_nc_u32_e32 v3, v3, v10
	v_mul_lo_u32 v5, v3, s2
	s_delay_alu instid0(VALU_DEP_1) | instskip(NEXT) | instid1(VALU_DEP_1)
	v_dual_add_nc_u32 v3, s6, v3 :: v_dual_sub_nc_u32 v1, v1, v5
	v_cmp_eq_u32_e32 vcc_lo, 0, v1
	v_cndmask_b32_e64 v1, v1, s2, vcc_lo
	s_delay_alu instid0(VALU_DEP_3) | instskip(SKIP_1) | instid1(VALU_DEP_3)
	v_subrev_co_ci_u32_e64 v3, null, 0, v3, vcc_lo
	v_cmp_le_i32_e32 vcc_lo, s46, v4
	v_add_nc_u32_e32 v1, s26, v1
	s_or_b32 s11, vcc_lo, s11
	s_delay_alu instid0(VALU_DEP_1)
	v_mad_u32 v1, v3, s76, v1
	global_load_b32 v1, v1, s[52:53] scale_offset
	s_wait_loadcnt 0x0
	global_store_b32 v[8:9], v1, off
	s_wait_xcnt 0x0
	v_add_nc_u64_e32 v[8:9], 0x400, v[8:9]
	s_and_not1_b32 exec_lo, exec_lo, s11
	s_cbranch_execnz .LBB0_122
.LBB0_123:
	s_or_b32 exec_lo, exec_lo, s9
	s_wait_storecnt 0x0
	s_barrier_signal -1
	s_barrier_wait -1
	s_and_saveexec_b32 s2, s1
	s_cbranch_execz .LBB0_131
; %bb.124:
	v_mov_b32_e32 v4, v0
	s_mov_b32 s3, -1
	s_add_co_i32 s6, s45, -1
	s_add_co_i32 s9, s44, -2
	s_mov_b32 s5, exec_lo
	v_cmpx_lt_u32_e32 0xff, v13
	s_cbranch_execz .LBB0_128
; %bb.125:
	s_abs_i32 s26, s94
	v_dual_lshrrev_b32 v3, 8, v13 :: v_dual_mov_b32 v5, 0
	s_cvt_f32_u32 s3, s26
	s_sub_co_i32 s10, 0, s26
	s_mov_b32 s11, 0
	s_delay_alu instid0(VALU_DEP_1)
	v_add_nc_u32_e32 v3, 1, v3
	v_rcp_iflag_f32_e32 v1, s3
	s_mov_b32 s3, s6
	s_mov_b32 s27, s9
	;; [unrolled: 1-line block ×3, first 2 shown]
	v_and_b32_e32 v8, 0x1fffffe, v3
	s_mov_b32 s43, s76
	s_ashr_i32 s44, s94, 31
	v_readfirstlane_b32 s4, v1
	v_add_nc_u32_e32 v1, 0x100, v0
	s_mov_b32 s45, s11
	s_mul_f32 s4, s4, 0x4f7ffffe
	s_delay_alu instid0(VALU_DEP_1) | instskip(SKIP_1) | instid1(SALU_CYCLE_1)
	v_mov_b64_e32 v[6:7], v[0:1]
	v_mov_b32_e32 v1, v8
	s_cvt_u32_f32 s4, s4
	s_delay_alu instid0(SALU_CYCLE_3) | instskip(NEXT) | instid1(SALU_CYCLE_1)
	s_mul_i32 s10, s10, s4
	s_mul_hi_u32 s10, s4, s10
	s_delay_alu instid0(SALU_CYCLE_1)
	s_add_co_i32 s10, s4, s10
.LBB0_126:                              ; =>This Inner Loop Header: Depth=1
	s_delay_alu instid0(VALU_DEP_2) | instskip(SKIP_3) | instid1(VALU_DEP_3)
	v_dual_add_nc_u32 v9, 1, v6 :: v_dual_add_nc_u32 v14, 1, v7
	v_not_b32_e32 v4, v6
	v_not_b32_e32 v16, v7
	v_add_nc_u32_e32 v1, -2, v1
	v_dual_ashrrev_i32 v18, 31, v9 :: v_dual_max_i32 v4, v9, v4
	s_delay_alu instid0(VALU_DEP_1) | instskip(NEXT) | instid1(VALU_DEP_1)
	v_mul_u64_e32 v[10:11], s[10:11], v[4:5]
	v_dual_ashrrev_i32 v19, 31, v14 :: v_dual_add_nc_u32 v20, 1, v11
	v_mul_lo_u32 v10, v11, s26
	s_delay_alu instid0(VALU_DEP_1) | instskip(NEXT) | instid1(VALU_DEP_1)
	v_dual_sub_nc_u32 v10, v4, v10 :: v_dual_max_i32 v4, v14, v16
	v_subrev_nc_u32_e32 v21, s26, v10
	s_delay_alu instid0(VALU_DEP_2) | instskip(SKIP_2) | instid1(VALU_DEP_3)
	v_mul_u64_e32 v[16:17], s[10:11], v[4:5]
	v_cmp_le_u32_e32 vcc_lo, s26, v10
	v_cndmask_b32_e32 v11, v11, v20, vcc_lo
	v_mul_lo_u32 v16, v17, s26
	s_delay_alu instid0(VALU_DEP_1) | instskip(SKIP_1) | instid1(VALU_DEP_2)
	v_dual_sub_nc_u32 v4, v4, v16 :: v_dual_bitop2_b32 v18, s44, v18 bitop3:0x14
	v_add_nc_u32_e32 v16, 1, v17
	v_cmp_le_u32_e64 s4, s26, v4
	v_subrev_nc_u32_e32 v22, s26, v4
	s_delay_alu instid0(VALU_DEP_2) | instskip(NEXT) | instid1(VALU_DEP_2)
	v_dual_cndmask_b32 v10, v10, v21, vcc_lo :: v_dual_cndmask_b32 v16, v17, v16, s4
	v_dual_cndmask_b32 v4, v4, v22, s4 :: v_dual_add_nc_u32 v17, 1, v11
	s_delay_alu instid0(VALU_DEP_2) | instskip(NEXT) | instid1(VALU_DEP_3)
	v_cmp_le_u32_e32 vcc_lo, s26, v10
	v_add_nc_u32_e32 v10, 1, v16
	s_delay_alu instid0(VALU_DEP_3) | instskip(NEXT) | instid1(VALU_DEP_4)
	v_cmp_le_u32_e64 s4, s26, v4
	v_dual_cndmask_b32 v11, v11, v17, vcc_lo :: v_dual_bitop2_b32 v4, s44, v19 bitop3:0x14
	s_delay_alu instid0(VALU_DEP_2) | instskip(NEXT) | instid1(VALU_DEP_1)
	v_cndmask_b32_e64 v10, v16, v10, s4
	v_xor_b32_e32 v10, v10, v4
	s_delay_alu instid0(VALU_DEP_1) | instskip(NEXT) | instid1(VALU_DEP_1)
	v_dual_sub_nc_u32 v4, v10, v4 :: v_dual_bitop2_b32 v11, v11, v18 bitop3:0x14
	v_sub_nc_u32_e32 v11, v11, v18
	s_delay_alu instid0(VALU_DEP_2) | instskip(NEXT) | instid1(VALU_DEP_2)
	v_mul_lo_u32 v16, v4, s42
	v_mul_lo_u32 v10, v11, s94
	v_dual_add_nc_u32 v11, s6, v11 :: v_dual_add_nc_u32 v4, s3, v4
	s_delay_alu instid0(VALU_DEP_2) | instskip(NEXT) | instid1(VALU_DEP_1)
	v_dual_sub_nc_u32 v9, v9, v10 :: v_dual_sub_nc_u32 v10, v14, v16
	v_cmp_eq_u32_e32 vcc_lo, 0, v9
	s_delay_alu instid0(VALU_DEP_2) | instskip(SKIP_1) | instid1(VALU_DEP_2)
	v_cmp_eq_u32_e64 s4, 0, v10
	v_cndmask_b32_e64 v9, v9, s94, vcc_lo
	v_cndmask_b32_e64 v10, v10, s42, s4
	v_subrev_co_ci_u32_e64 v11, null, 0, v11, vcc_lo
	v_subrev_co_ci_u32_e64 v4, null, 0, v4, s4
	s_delay_alu instid0(VALU_DEP_3) | instskip(SKIP_1) | instid1(VALU_DEP_2)
	v_dual_add_nc_u32 v9, s9, v9 :: v_dual_add_nc_u32 v10, s27, v10
	v_cmp_eq_u32_e32 vcc_lo, 0, v1
	v_mad_u32 v9, v11, s76, v9
	s_delay_alu instid0(VALU_DEP_3)
	v_mad_u32 v4, v4, s43, v10
	s_clause 0x1
	global_load_b32 v9, v9, s[52:53] scale_offset
	global_load_b32 v14, v4, s[52:53] scale_offset
	s_wait_xcnt 0x0
	v_mov_b32_e32 v4, v6
	v_add_nc_u32_e32 v6, 0x200, v6
	s_or_b32 s45, vcc_lo, s45
	s_delay_alu instid0(VALU_DEP_2) | instskip(SKIP_1) | instid1(VALU_DEP_1)
	v_lshl_add_u64 v[10:11], v[4:5], 2, s[36:37]
	v_dual_mov_b32 v4, v7 :: v_dual_add_nc_u32 v7, 0x200, v7
	v_lshl_add_u64 v[16:17], v[4:5], 2, s[36:37]
	s_wait_loadcnt 0x1
	global_store_b32 v[10:11], v9, off
	s_wait_loadcnt 0x0
	global_store_b32 v[16:17], v14, off
	s_wait_xcnt 0x0
	s_and_not1_b32 exec_lo, exec_lo, s45
	s_cbranch_execnz .LBB0_126
; %bb.127:
	s_or_b32 exec_lo, exec_lo, s45
	v_cmp_ne_u32_e32 vcc_lo, v3, v8
	v_lshl_add_u32 v4, v8, 8, v0
	s_or_not1_b32 s3, vcc_lo, exec_lo
.LBB0_128:
	s_or_b32 exec_lo, exec_lo, s5
	s_delay_alu instid0(SALU_CYCLE_1)
	s_and_b32 exec_lo, exec_lo, s3
	s_cbranch_execz .LBB0_131
; %bb.129:
	s_abs_i32 s3, s94
	v_mov_b32_e32 v7, 0
	s_cvt_f32_u32 s4, s3
	s_sub_co_i32 s5, 0, s3
	s_ashr_i32 s10, s94, 31
	s_delay_alu instid0(VALU_DEP_1) | instskip(SKIP_1) | instid1(VALU_DEP_1)
	v_mov_b32_e32 v5, v7
	v_rcp_iflag_f32_e32 v1, s4
	v_lshl_add_u64 v[8:9], v[4:5], 2, s[36:37]
	s_delay_alu instid0(TRANS32_DEP_1) | instskip(SKIP_1) | instid1(SALU_CYCLE_3)
	v_readfirstlane_b32 s4, v1
	s_mul_f32 s4, s4, 0x4f7ffffe
	s_cvt_u32_f32 s4, s4
	s_delay_alu instid0(SALU_CYCLE_3) | instskip(NEXT) | instid1(SALU_CYCLE_1)
	s_mul_i32 s5, s5, s4
	s_mul_hi_u32 s11, s4, s5
	s_mov_b32 s5, 0
	s_add_co_i32 s4, s4, s11
	s_mov_b32 s11, s5
.LBB0_130:                              ; =>This Inner Loop Header: Depth=1
	v_add_nc_u32_e32 v1, 1, v4
	v_not_b32_e32 v3, v4
	v_add_nc_u32_e32 v4, 0x100, v4
	s_delay_alu instid0(VALU_DEP_2) | instskip(NEXT) | instid1(VALU_DEP_1)
	v_max_i32_e32 v6, v1, v3
	v_mul_u64_e32 v[10:11], s[4:5], v[6:7]
	s_delay_alu instid0(VALU_DEP_1) | instskip(SKIP_1) | instid1(VALU_DEP_1)
	v_mul_lo_u32 v3, v11, s3
	v_dual_add_nc_u32 v5, 1, v11 :: v_dual_ashrrev_i32 v10, 31, v1
	v_dual_sub_nc_u32 v3, v6, v3 :: v_dual_bitop2_b32 v10, s10, v10 bitop3:0x14
	s_delay_alu instid0(VALU_DEP_1) | instskip(SKIP_1) | instid1(VALU_DEP_4)
	v_subrev_nc_u32_e32 v6, s3, v3
	v_cmp_le_u32_e32 vcc_lo, s3, v3
	v_cndmask_b32_e32 v5, v11, v5, vcc_lo
	s_delay_alu instid0(VALU_DEP_1) | instskip(NEXT) | instid1(VALU_DEP_1)
	v_dual_cndmask_b32 v3, v3, v6 :: v_dual_add_nc_u32 v6, 1, v5
	v_cmp_le_u32_e32 vcc_lo, s3, v3
	s_delay_alu instid0(VALU_DEP_2) | instskip(NEXT) | instid1(VALU_DEP_1)
	v_cndmask_b32_e32 v3, v5, v6, vcc_lo
	v_xor_b32_e32 v3, v3, v10
	s_delay_alu instid0(VALU_DEP_1) | instskip(NEXT) | instid1(VALU_DEP_1)
	v_sub_nc_u32_e32 v3, v3, v10
	v_mul_lo_u32 v5, v3, s94
	s_delay_alu instid0(VALU_DEP_1) | instskip(NEXT) | instid1(VALU_DEP_1)
	v_dual_add_nc_u32 v3, s6, v3 :: v_dual_sub_nc_u32 v1, v1, v5
	v_cmp_eq_u32_e32 vcc_lo, 0, v1
	v_cndmask_b32_e64 v1, v1, s94, vcc_lo
	s_delay_alu instid0(VALU_DEP_3) | instskip(SKIP_1) | instid1(VALU_DEP_3)
	v_subrev_co_ci_u32_e64 v3, null, 0, v3, vcc_lo
	v_cmp_le_i32_e32 vcc_lo, vcc_hi, v4
	v_add_nc_u32_e32 v1, s9, v1
	s_or_b32 s11, vcc_lo, s11
	s_delay_alu instid0(VALU_DEP_1)
	v_mad_u32 v1, v3, s76, v1
	global_load_b32 v1, v1, s[52:53] scale_offset
	s_wait_loadcnt 0x0
	global_store_b32 v[8:9], v1, off
	s_wait_xcnt 0x0
	v_add_nc_u64_e32 v[8:9], 0x400, v[8:9]
	s_and_not1_b32 exec_lo, exec_lo, s11
	s_cbranch_execnz .LBB0_130
.LBB0_131:
	s_or_b32 exec_lo, exec_lo, s2
	s_wait_storecnt 0x0
	s_barrier_signal -1
	s_barrier_wait -1
	s_and_saveexec_b32 s2, s1
	s_cbranch_execz .LBB0_139
; %bb.132:
	v_mov_b32_e32 v4, v0
	s_mov_b32 s3, -1
	s_mov_b32 s1, exec_lo
	v_cmpx_lt_u32_e32 0x2ff, v13
	s_cbranch_execz .LBB0_136
; %bb.133:
	v_dual_lshrrev_b32 v1, 8, v13 :: v_dual_mov_b32 v5, 0
	s_mov_b32 s3, 0
	s_delay_alu instid0(VALU_DEP_1) | instskip(SKIP_1) | instid1(VALU_DEP_2)
	v_add_nc_u32_e32 v3, 1, v1
	v_add_nc_u32_e32 v1, 0x100, v0
	v_and_b32_e32 v8, 0x1fffffc, v3
	s_delay_alu instid0(VALU_DEP_2) | instskip(NEXT) | instid1(VALU_DEP_2)
	v_mov_b64_e32 v[6:7], v[0:1]
	v_mov_b32_e32 v9, v8
.LBB0_134:                              ; =>This Inner Loop Header: Depth=1
	s_delay_alu instid0(VALU_DEP_2) | instskip(NEXT) | instid1(VALU_DEP_3)
	v_dual_mov_b32 v4, v6 :: v_dual_mov_b32 v11, v5
	v_dual_mov_b32 v17, v5 :: v_dual_add_nc_u32 v10, 0x200, v7
	v_add_nc_u32_e32 v16, 0x200, v6
	s_delay_alu instid0(VALU_DEP_3) | instskip(SKIP_1) | instid1(VALU_DEP_4)
	v_lshlrev_b64_e32 v[18:19], 2, v[4:5]
	v_dual_mov_b32 v4, v7 :: v_dual_add_nc_u32 v9, -4, v9
	v_lshlrev_b64_e32 v[10:11], 2, v[10:11]
	s_delay_alu instid0(VALU_DEP_4) | instskip(SKIP_1) | instid1(VALU_DEP_4)
	v_lshlrev_b64_e32 v[16:17], 2, v[16:17]
	v_add_nc_u32_e32 v6, 0x400, v6
	v_lshlrev_b64_e32 v[20:21], 2, v[4:5]
	v_add_nc_u64_e32 v[22:23], s[38:39], v[18:19]
	v_add_nc_u64_e32 v[18:19], s[36:37], v[18:19]
	v_cmp_eq_u32_e32 vcc_lo, 0, v9
	v_add_nc_u64_e32 v[26:27], s[38:39], v[10:11]
	v_add_nc_u64_e32 v[24:25], s[38:39], v[16:17]
	;; [unrolled: 1-line block ×6, first 2 shown]
	v_add_nc_u32_e32 v7, 0x400, v7
	global_load_b32 v30, v[18:19], off
	s_clause 0x3
	global_load_b32 v22, v[22:23], off
	global_load_b32 v23, v[28:29], off
	;; [unrolled: 1-line block ×4, first 2 shown]
	s_clause 0x2
	global_load_b32 v31, v[20:21], off
	global_load_b32 v26, v[16:17], off
	;; [unrolled: 1-line block ×3, first 2 shown]
	s_or_b32 s3, vcc_lo, s3
	s_wait_loadcnt 0x2
	v_pk_add_f32 v[22:23], v[22:23], v[30:31] neg_lo:[0,1] neg_hi:[0,1]
	s_wait_loadcnt 0x0
	v_pk_add_f32 v[24:25], v[24:25], v[26:27] neg_lo:[0,1] neg_hi:[0,1]
	s_clause 0x3
	global_store_b32 v[18:19], v22, off
	global_store_b32 v[20:21], v23, off
	;; [unrolled: 1-line block ×4, first 2 shown]
	s_wait_xcnt 0x0
	s_and_not1_b32 exec_lo, exec_lo, s3
	s_cbranch_execnz .LBB0_134
; %bb.135:
	s_or_b32 exec_lo, exec_lo, s3
	v_cmp_ne_u32_e32 vcc_lo, v3, v8
	v_lshl_or_b32 v4, v8, 8, v0
	s_or_not1_b32 s3, vcc_lo, exec_lo
.LBB0_136:
	s_or_b32 exec_lo, exec_lo, s1
	s_delay_alu instid0(SALU_CYCLE_1)
	s_and_b32 exec_lo, exec_lo, s3
	s_cbranch_execz .LBB0_139
; %bb.137:
	v_mov_b32_e32 v5, 0
	s_mov_b32 s1, 0
	s_delay_alu instid0(VALU_DEP_1) | instskip(NEXT) | instid1(VALU_DEP_1)
	v_lshlrev_b64_e32 v[8:9], 2, v[4:5]
	v_add_nc_u64_e32 v[6:7], s[38:39], v[8:9]
	v_add_nc_u64_e32 v[8:9], s[36:37], v[8:9]
.LBB0_138:                              ; =>This Inner Loop Header: Depth=1
	global_load_b32 v1, v[6:7], off
	global_load_b32 v3, v[8:9], off
	v_add_nc_u32_e32 v4, 0x100, v4
	s_wait_xcnt 0x1
	v_add_nc_u64_e32 v[6:7], 0x400, v[6:7]
	s_wait_loadcnt 0x0
	v_sub_f32_e32 v1, v1, v3
	v_cmp_le_i32_e32 vcc_lo, vcc_hi, v4
	global_store_b32 v[8:9], v1, off
	s_wait_xcnt 0x0
	v_add_nc_u64_e32 v[8:9], 0x400, v[8:9]
	s_or_b32 s1, vcc_lo, s1
	s_delay_alu instid0(SALU_CYCLE_1)
	s_and_not1_b32 exec_lo, exec_lo, s1
	s_cbranch_execnz .LBB0_138
.LBB0_139:
	s_or_b32 exec_lo, exec_lo, s2
	s_wait_storecnt 0x0
	s_barrier_signal -1
	s_barrier_wait -1
	s_and_saveexec_b32 s1, s7
	s_cbranch_execz .LBB0_146
; %bb.140:
	v_dual_mov_b32 v3, 0 :: v_dual_mov_b32 v1, v0
	s_cmp_gt_i32 vcc_hi, 0
	s_mov_b32 s3, 0
	s_cselect_b32 s2, -1, 0
	s_delay_alu instid0(VALU_DEP_1) | instskip(SKIP_1) | instid1(SALU_CYCLE_1)
	v_add_nc_u64_e32 v[4:5], s[36:37], v[2:3]
	s_ashr_i32 s95, s94, 31
	s_lshl_b64 s[4:5], s[94:95], 2
	s_branch .LBB0_142
.LBB0_141:                              ;   in Loop: Header=BB0_142 Depth=1
	v_add_nc_u32_e32 v1, 0x100, v1
	v_add_nc_u64_e32 v[4:5], 0x400, v[4:5]
	s_delay_alu instid0(VALU_DEP_2) | instskip(SKIP_1) | instid1(SALU_CYCLE_1)
	v_cmp_le_i32_e32 vcc_lo, s94, v1
	s_or_b32 s3, vcc_lo, s3
	s_and_not1_b32 exec_lo, exec_lo, s3
	s_cbranch_execz .LBB0_146
.LBB0_142:                              ; =>This Loop Header: Depth=1
                                        ;     Child Loop BB0_144 Depth 2
	s_and_not1_b32 vcc_lo, exec_lo, s2
	s_cbranch_vccnz .LBB0_141
; %bb.143:                              ;   in Loop: Header=BB0_142 Depth=1
	s_delay_alu instid0(VALU_DEP_1)
	v_mov_b64_e32 v[6:7], v[4:5]
	v_dual_mov_b32 v8, 0 :: v_dual_add_nc_u32 v3, vcc_hi, v1
	v_mov_b32_e32 v9, v1
	s_mov_b32 s6, 0
.LBB0_144:                              ;   Parent Loop BB0_142 Depth=1
                                        ; =>  This Inner Loop Header: Depth=2
	global_load_b32 v10, v[6:7], off
	s_wait_loadcnt 0x0
	v_dual_add_f32 v8, v8, v10 :: v_dual_add_nc_u32 v9, s94, v9
	s_delay_alu instid0(VALU_DEP_1) | instskip(SKIP_4) | instid1(SALU_CYCLE_1)
	v_cmp_ge_i32_e32 vcc_lo, v9, v3
	global_store_b32 v[6:7], v8, off
	s_wait_xcnt 0x0
	v_add_nc_u64_e32 v[6:7], s[4:5], v[6:7]
	s_or_b32 s6, vcc_lo, s6
	s_and_not1_b32 exec_lo, exec_lo, s6
	s_cbranch_execnz .LBB0_144
; %bb.145:                              ;   in Loop: Header=BB0_142 Depth=1
	s_or_b32 exec_lo, exec_lo, s6
	s_branch .LBB0_141
.LBB0_146:
	s_or_b32 exec_lo, exec_lo, s1
	s_wait_storecnt 0x0
	s_barrier_signal -1
	s_barrier_wait -1
	s_and_saveexec_b32 s2, s8
	s_cbranch_execz .LBB0_154
; %bb.147:
	v_readlane_b32 s3, v34, 19
	v_mov_b32_e32 v4, v0
	s_mov_b32 s1, -1
	s_mov_b32 s8, exec_lo
	s_add_co_i32 s6, s3, -1
	v_readlane_b32 s3, v34, 18
	s_add_co_i32 s7, s3, -2
	v_cmpx_lt_u32_e32 0xff, v15
	s_cbranch_execz .LBB0_151
; %bb.148:
	s_abs_i32 s3, s71
	v_dual_lshrrev_b32 v3, 8, v15 :: v_dual_mov_b32 v5, 0
	s_cvt_f32_u32 s1, s3
	s_sub_co_i32 s4, 0, s3
	s_mov_b32 s5, 0
	s_delay_alu instid0(VALU_DEP_1)
	v_add_nc_u32_e32 v3, 1, v3
	v_rcp_iflag_f32_e32 v1, s1
	s_mov_b32 s9, s6
	s_mov_b32 s10, s7
	;; [unrolled: 1-line block ×3, first 2 shown]
	v_and_b32_e32 v8, 0x1fffffe, v3
	s_mov_b32 s26, s94
	s_ashr_i32 s27, s71, 31
	v_readfirstlane_b32 s1, v1
	v_add_nc_u32_e32 v1, 0x100, v0
	s_mov_b32 s38, s5
	s_mul_f32 s1, s1, 0x4f7ffffe
	s_delay_alu instid0(VALU_DEP_1) | instskip(SKIP_1) | instid1(SALU_CYCLE_1)
	v_mov_b64_e32 v[6:7], v[0:1]
	v_mov_b32_e32 v1, v8
	s_cvt_u32_f32 s1, s1
	s_delay_alu instid0(SALU_CYCLE_3) | instskip(NEXT) | instid1(SALU_CYCLE_1)
	s_mul_i32 s4, s4, s1
	s_mul_hi_u32 s4, s1, s4
	s_delay_alu instid0(SALU_CYCLE_1)
	s_add_co_i32 s4, s1, s4
.LBB0_149:                              ; =>This Inner Loop Header: Depth=1
	s_delay_alu instid0(VALU_DEP_2) | instskip(SKIP_2) | instid1(VALU_DEP_2)
	v_add_nc_u32_e32 v9, 1, v6
	v_not_b32_e32 v4, v6
	v_not_b32_e32 v14, v7
	v_dual_add_nc_u32 v1, -2, v1 :: v_dual_max_i32 v4, v9, v4
	s_delay_alu instid0(VALU_DEP_1) | instskip(SKIP_1) | instid1(VALU_DEP_1)
	v_mul_u64_e32 v[10:11], s[4:5], v[4:5]
	v_add_nc_u32_e32 v10, 1, v7
	v_dual_ashrrev_i32 v16, 31, v10 :: v_dual_add_nc_u32 v17, 1, v11
	v_mul_lo_u32 v13, v11, s3
	s_delay_alu instid0(VALU_DEP_1) | instskip(NEXT) | instid1(VALU_DEP_1)
	v_dual_sub_nc_u32 v13, v4, v13 :: v_dual_max_i32 v4, v10, v14
	v_subrev_nc_u32_e32 v18, s3, v13
	s_delay_alu instid0(VALU_DEP_2) | instskip(SKIP_3) | instid1(VALU_DEP_3)
	v_mul_u64_e32 v[14:15], s[4:5], v[4:5]
	v_ashrrev_i32_e32 v14, 31, v9
	v_cmp_le_u32_e32 vcc_lo, s3, v13
	v_xor_b32_e32 v16, s27, v16
	v_dual_cndmask_b32 v11, v11, v17, vcc_lo :: v_dual_bitop2_b32 v14, s27, v14 bitop3:0x14
	s_delay_alu instid0(VALU_DEP_1) | instskip(NEXT) | instid1(VALU_DEP_1)
	v_dual_cndmask_b32 v13, v13, v18, vcc_lo :: v_dual_add_nc_u32 v17, 1, v11
	v_cmp_le_u32_e32 vcc_lo, s3, v13
	s_delay_alu instid0(VALU_DEP_2) | instskip(NEXT) | instid1(VALU_DEP_1)
	v_cndmask_b32_e32 v11, v11, v17, vcc_lo
	v_xor_b32_e32 v11, v11, v14
	v_mul_lo_u32 v13, v15, s3
	s_delay_alu instid0(VALU_DEP_2) | instskip(NEXT) | instid1(VALU_DEP_2)
	v_dual_sub_nc_u32 v11, v11, v14 :: v_dual_add_nc_u32 v14, 1, v15
	v_sub_nc_u32_e32 v4, v4, v13
	s_delay_alu instid0(VALU_DEP_1) | instskip(SKIP_1) | instid1(VALU_DEP_2)
	v_subrev_nc_u32_e32 v13, s3, v4
	v_cmp_le_u32_e32 vcc_lo, s3, v4
	v_dual_cndmask_b32 v14, v15, v14, vcc_lo :: v_dual_cndmask_b32 v4, v4, v13, vcc_lo
	s_delay_alu instid0(VALU_DEP_1) | instskip(NEXT) | instid1(VALU_DEP_2)
	v_add_nc_u32_e32 v13, 1, v14
	v_cmp_le_u32_e32 vcc_lo, s3, v4
	s_delay_alu instid0(VALU_DEP_2) | instskip(SKIP_1) | instid1(VALU_DEP_2)
	v_cndmask_b32_e32 v4, v14, v13, vcc_lo
	v_mul_lo_u32 v13, v11, s71
	v_dual_add_nc_u32 v11, s6, v11 :: v_dual_bitop2_b32 v4, v4, v16 bitop3:0x14
	s_delay_alu instid0(VALU_DEP_1) | instskip(NEXT) | instid1(VALU_DEP_1)
	v_dual_sub_nc_u32 v4, v4, v16 :: v_dual_sub_nc_u32 v9, v9, v13
	v_mul_lo_u32 v14, v4, s11
	v_add_nc_u32_e32 v4, s9, v4
	s_delay_alu instid0(VALU_DEP_3)
	v_cmp_eq_u32_e32 vcc_lo, 0, v9
	v_cndmask_b32_e64 v9, v9, s71, vcc_lo
	v_subrev_co_ci_u32_e64 v11, null, 0, v11, vcc_lo
	v_cmp_eq_u32_e32 vcc_lo, 0, v1
	v_sub_nc_u32_e32 v10, v10, v14
	s_or_b32 s38, vcc_lo, s38
	s_delay_alu instid0(VALU_DEP_1) | instskip(NEXT) | instid1(VALU_DEP_1)
	v_cmp_eq_u32_e64 s1, 0, v10
	v_cndmask_b32_e64 v10, v10, s11, s1
	v_add_nc_u32_e32 v9, s7, v9
	v_subrev_co_ci_u32_e64 v4, null, 0, v4, s1
	s_delay_alu instid0(VALU_DEP_3) | instskip(NEXT) | instid1(VALU_DEP_3)
	v_add_nc_u32_e32 v10, s10, v10
	v_mad_u32 v9, v11, s94, v9
	s_delay_alu instid0(VALU_DEP_2)
	v_mad_u32 v4, v4, s26, v10
	s_clause 0x1
	global_load_b32 v9, v9, s[36:37] scale_offset
	global_load_b32 v13, v4, s[36:37] scale_offset
	s_wait_xcnt 0x0
	v_mov_b32_e32 v4, v6
	v_add_nc_u32_e32 v6, 0x200, v6
	s_delay_alu instid0(VALU_DEP_2) | instskip(SKIP_1) | instid1(VALU_DEP_1)
	v_lshl_add_u64 v[10:11], v[4:5], 2, s[40:41]
	v_dual_mov_b32 v4, v7 :: v_dual_add_nc_u32 v7, 0x200, v7
	v_lshl_add_u64 v[14:15], v[4:5], 2, s[40:41]
	s_wait_loadcnt 0x1
	global_store_b32 v[10:11], v9, off
	s_wait_loadcnt 0x0
	global_store_b32 v[14:15], v13, off
	s_wait_xcnt 0x0
	s_and_not1_b32 exec_lo, exec_lo, s38
	s_cbranch_execnz .LBB0_149
; %bb.150:
	s_or_b32 exec_lo, exec_lo, s38
	v_cmp_ne_u32_e32 vcc_lo, v3, v8
	v_lshl_add_u32 v4, v8, 8, v0
	s_or_not1_b32 s1, vcc_lo, exec_lo
.LBB0_151:
	s_or_b32 exec_lo, exec_lo, s8
	s_delay_alu instid0(SALU_CYCLE_1)
	s_and_b32 exec_lo, exec_lo, s1
	s_cbranch_execz .LBB0_154
; %bb.152:
	s_abs_i32 s1, s71
	v_mov_b32_e32 v7, 0
	s_cvt_f32_u32 s3, s1
	s_sub_co_i32 s5, 0, s1
	s_delay_alu instid0(VALU_DEP_1) | instskip(NEXT) | instid1(SALU_CYCLE_1)
	v_mov_b32_e32 v5, v7
	v_rcp_iflag_f32_e32 v1, s3
	s_delay_alu instid0(VALU_DEP_1) | instskip(NEXT) | instid1(TRANS32_DEP_1)
	v_lshl_add_u64 v[8:9], v[4:5], 2, s[40:41]
	v_readfirstlane_b32 s3, v1
	s_mul_f32 s3, s3, 0x4f7ffffe
	s_delay_alu instid0(SALU_CYCLE_3) | instskip(SKIP_1) | instid1(SALU_CYCLE_2)
	s_cvt_u32_f32 s4, s3
	s_ashr_i32 s3, s71, 31
	s_mul_i32 s5, s5, s4
	s_delay_alu instid0(SALU_CYCLE_1)
	s_mul_hi_u32 s8, s4, s5
	s_mov_b32 s5, 0
	s_add_co_i32 s4, s4, s8
	s_mov_b32 s8, s5
.LBB0_153:                              ; =>This Inner Loop Header: Depth=1
	v_add_nc_u32_e32 v1, 1, v4
	v_not_b32_e32 v3, v4
	v_add_nc_u32_e32 v4, 0x100, v4
	s_delay_alu instid0(VALU_DEP_2) | instskip(NEXT) | instid1(VALU_DEP_1)
	v_max_i32_e32 v6, v1, v3
	v_mul_u64_e32 v[10:11], s[4:5], v[6:7]
	s_delay_alu instid0(VALU_DEP_1) | instskip(SKIP_1) | instid1(VALU_DEP_1)
	v_mul_lo_u32 v3, v11, s1
	v_dual_add_nc_u32 v5, 1, v11 :: v_dual_ashrrev_i32 v10, 31, v1
	v_dual_sub_nc_u32 v3, v6, v3 :: v_dual_bitop2_b32 v10, s3, v10 bitop3:0x14
	s_delay_alu instid0(VALU_DEP_1) | instskip(SKIP_1) | instid1(VALU_DEP_4)
	v_subrev_nc_u32_e32 v6, s1, v3
	v_cmp_le_u32_e32 vcc_lo, s1, v3
	v_cndmask_b32_e32 v5, v11, v5, vcc_lo
	s_delay_alu instid0(VALU_DEP_1) | instskip(NEXT) | instid1(VALU_DEP_1)
	v_dual_cndmask_b32 v3, v3, v6 :: v_dual_add_nc_u32 v6, 1, v5
	v_cmp_le_u32_e32 vcc_lo, s1, v3
	s_delay_alu instid0(VALU_DEP_2) | instskip(NEXT) | instid1(VALU_DEP_1)
	v_cndmask_b32_e32 v3, v5, v6, vcc_lo
	v_xor_b32_e32 v3, v3, v10
	s_delay_alu instid0(VALU_DEP_1) | instskip(NEXT) | instid1(VALU_DEP_1)
	v_sub_nc_u32_e32 v3, v3, v10
	v_mul_lo_u32 v5, v3, s71
	s_delay_alu instid0(VALU_DEP_1) | instskip(NEXT) | instid1(VALU_DEP_1)
	v_dual_add_nc_u32 v3, s6, v3 :: v_dual_sub_nc_u32 v1, v1, v5
	v_cmp_eq_u32_e32 vcc_lo, 0, v1
	v_cndmask_b32_e64 v1, v1, s71, vcc_lo
	s_delay_alu instid0(VALU_DEP_3) | instskip(SKIP_1) | instid1(VALU_DEP_3)
	v_subrev_co_ci_u32_e64 v3, null, 0, v3, vcc_lo
	v_cmp_le_i32_e32 vcc_lo, s83, v4
	v_add_nc_u32_e32 v1, s7, v1
	s_or_b32 s8, vcc_lo, s8
	s_delay_alu instid0(VALU_DEP_1)
	v_mad_u32 v1, v3, s94, v1
	global_load_b32 v1, v1, s[36:37] scale_offset
	s_wait_loadcnt 0x0
	global_store_b32 v[8:9], v1, off
	s_wait_xcnt 0x0
	v_add_nc_u64_e32 v[8:9], 0x400, v[8:9]
	s_and_not1_b32 exec_lo, exec_lo, s8
	s_cbranch_execnz .LBB0_153
.LBB0_154:
	s_or_b32 exec_lo, exec_lo, s2
	v_readlane_b32 s1, v34, 21
	s_wait_storecnt 0x0
	s_barrier_signal -1
	s_barrier_wait -1
	s_mul_i32 s2, s1, s98
	s_delay_alu instid0(SALU_CYCLE_1) | instskip(NEXT) | instid1(SALU_CYCLE_1)
	s_ashr_i32 s3, s2, 31
	s_lshl_b64 s[2:3], s[2:3], 2
	s_delay_alu instid0(SALU_CYCLE_1)
	s_add_nc_u64 s[6:7], s[28:29], s[2:3]
	s_and_saveexec_b32 s2, s0
	s_cbranch_execz .LBB0_162
; %bb.155:
	v_readlane_b32 s3, v34, 20
	v_mov_b32_e32 v4, v0
	s_mov_b32 s1, -1
	s_add_co_i32 s9, s99, -2
	s_mov_b32 s10, exec_lo
	s_add_co_i32 s8, s3, -1
	v_cmpx_lt_u32_e32 0xff, v12
	s_cbranch_execz .LBB0_159
; %bb.156:
	s_abs_i32 s3, s104
	v_dual_lshrrev_b32 v3, 8, v12 :: v_dual_mov_b32 v5, 0
	s_cvt_f32_u32 s1, s3
	s_sub_co_i32 s4, 0, s3
	s_mov_b32 s5, 0
	s_delay_alu instid0(VALU_DEP_1)
	v_add_nc_u32_e32 v3, 1, v3
	v_rcp_iflag_f32_e32 v1, s1
	s_mov_b32 s11, s8
	s_mov_b32 s26, s9
	;; [unrolled: 1-line block ×3, first 2 shown]
	v_and_b32_e32 v8, 0x1fffffe, v3
	s_mov_b32 s28, s94
	s_ashr_i32 s29, s104, 31
	v_readfirstlane_b32 s1, v1
	v_add_nc_u32_e32 v1, 0x100, v0
	s_mov_b32 s38, s5
	s_mul_f32 s1, s1, 0x4f7ffffe
	s_delay_alu instid0(VALU_DEP_1) | instskip(SKIP_1) | instid1(SALU_CYCLE_1)
	v_mov_b64_e32 v[6:7], v[0:1]
	v_mov_b32_e32 v1, v8
	s_cvt_u32_f32 s1, s1
	s_delay_alu instid0(SALU_CYCLE_3) | instskip(NEXT) | instid1(SALU_CYCLE_1)
	s_mul_i32 s4, s4, s1
	s_mul_hi_u32 s4, s1, s4
	s_delay_alu instid0(SALU_CYCLE_1)
	s_add_co_i32 s4, s1, s4
.LBB0_157:                              ; =>This Inner Loop Header: Depth=1
	s_delay_alu instid0(VALU_DEP_2) | instskip(SKIP_2) | instid1(VALU_DEP_2)
	v_add_nc_u32_e32 v9, 1, v6
	v_not_b32_e32 v4, v6
	v_not_b32_e32 v14, v7
	v_dual_add_nc_u32 v1, -2, v1 :: v_dual_max_i32 v4, v9, v4
	s_delay_alu instid0(VALU_DEP_1) | instskip(SKIP_1) | instid1(VALU_DEP_1)
	v_mul_u64_e32 v[10:11], s[4:5], v[4:5]
	v_add_nc_u32_e32 v10, 1, v7
	v_dual_ashrrev_i32 v16, 31, v10 :: v_dual_add_nc_u32 v17, 1, v11
	v_mul_lo_u32 v13, v11, s3
	s_delay_alu instid0(VALU_DEP_1) | instskip(NEXT) | instid1(VALU_DEP_1)
	v_dual_sub_nc_u32 v13, v4, v13 :: v_dual_max_i32 v4, v10, v14
	v_subrev_nc_u32_e32 v18, s3, v13
	s_delay_alu instid0(VALU_DEP_2) | instskip(SKIP_3) | instid1(VALU_DEP_3)
	v_mul_u64_e32 v[14:15], s[4:5], v[4:5]
	v_ashrrev_i32_e32 v14, 31, v9
	v_cmp_le_u32_e32 vcc_lo, s3, v13
	v_xor_b32_e32 v16, s29, v16
	v_dual_cndmask_b32 v11, v11, v17, vcc_lo :: v_dual_bitop2_b32 v14, s29, v14 bitop3:0x14
	s_delay_alu instid0(VALU_DEP_1) | instskip(NEXT) | instid1(VALU_DEP_1)
	v_dual_cndmask_b32 v13, v13, v18, vcc_lo :: v_dual_add_nc_u32 v17, 1, v11
	v_cmp_le_u32_e32 vcc_lo, s3, v13
	s_delay_alu instid0(VALU_DEP_2) | instskip(NEXT) | instid1(VALU_DEP_1)
	v_cndmask_b32_e32 v11, v11, v17, vcc_lo
	v_xor_b32_e32 v11, v11, v14
	v_mul_lo_u32 v13, v15, s3
	s_delay_alu instid0(VALU_DEP_2) | instskip(NEXT) | instid1(VALU_DEP_2)
	v_dual_sub_nc_u32 v11, v11, v14 :: v_dual_add_nc_u32 v14, 1, v15
	v_sub_nc_u32_e32 v4, v4, v13
	s_delay_alu instid0(VALU_DEP_1) | instskip(SKIP_1) | instid1(VALU_DEP_2)
	v_subrev_nc_u32_e32 v13, s3, v4
	v_cmp_le_u32_e32 vcc_lo, s3, v4
	v_dual_cndmask_b32 v14, v15, v14, vcc_lo :: v_dual_cndmask_b32 v4, v4, v13, vcc_lo
	s_delay_alu instid0(VALU_DEP_1) | instskip(NEXT) | instid1(VALU_DEP_2)
	v_add_nc_u32_e32 v13, 1, v14
	v_cmp_le_u32_e32 vcc_lo, s3, v4
	s_delay_alu instid0(VALU_DEP_2) | instskip(SKIP_1) | instid1(VALU_DEP_2)
	v_cndmask_b32_e32 v4, v14, v13, vcc_lo
	v_mul_lo_u32 v13, v11, s104
	v_dual_add_nc_u32 v11, s8, v11 :: v_dual_bitop2_b32 v4, v4, v16 bitop3:0x14
	s_delay_alu instid0(VALU_DEP_1) | instskip(NEXT) | instid1(VALU_DEP_1)
	v_dual_sub_nc_u32 v4, v4, v16 :: v_dual_sub_nc_u32 v9, v9, v13
	v_mul_lo_u32 v14, v4, s27
	v_add_nc_u32_e32 v4, s11, v4
	s_delay_alu instid0(VALU_DEP_3)
	v_cmp_eq_u32_e32 vcc_lo, 0, v9
	v_cndmask_b32_e64 v9, v9, s104, vcc_lo
	v_subrev_co_ci_u32_e64 v11, null, 0, v11, vcc_lo
	v_cmp_eq_u32_e32 vcc_lo, 0, v1
	v_sub_nc_u32_e32 v10, v10, v14
	s_or_b32 s38, vcc_lo, s38
	s_delay_alu instid0(VALU_DEP_1) | instskip(NEXT) | instid1(VALU_DEP_1)
	v_cmp_eq_u32_e64 s1, 0, v10
	v_cndmask_b32_e64 v10, v10, s27, s1
	v_add_nc_u32_e32 v9, s9, v9
	v_subrev_co_ci_u32_e64 v4, null, 0, v4, s1
	s_delay_alu instid0(VALU_DEP_3) | instskip(NEXT) | instid1(VALU_DEP_3)
	v_add_nc_u32_e32 v10, s26, v10
	v_mad_u32 v9, v11, s94, v9
	s_delay_alu instid0(VALU_DEP_2)
	v_mad_u32 v4, v4, s28, v10
	s_clause 0x1
	global_load_b32 v9, v9, s[36:37] scale_offset
	global_load_b32 v13, v4, s[36:37] scale_offset
	s_wait_xcnt 0x0
	v_mov_b32_e32 v4, v6
	v_add_nc_u32_e32 v6, 0x200, v6
	s_delay_alu instid0(VALU_DEP_2) | instskip(SKIP_1) | instid1(VALU_DEP_1)
	v_lshl_add_u64 v[10:11], v[4:5], 2, s[6:7]
	v_dual_mov_b32 v4, v7 :: v_dual_add_nc_u32 v7, 0x200, v7
	v_lshl_add_u64 v[14:15], v[4:5], 2, s[6:7]
	s_wait_loadcnt 0x1
	global_store_b32 v[10:11], v9, off
	s_wait_loadcnt 0x0
	global_store_b32 v[14:15], v13, off
	s_wait_xcnt 0x0
	s_and_not1_b32 exec_lo, exec_lo, s38
	s_cbranch_execnz .LBB0_157
; %bb.158:
	s_or_b32 exec_lo, exec_lo, s38
	v_cmp_ne_u32_e32 vcc_lo, v3, v8
	v_lshl_add_u32 v4, v8, 8, v0
	s_or_not1_b32 s1, vcc_lo, exec_lo
.LBB0_159:
	s_or_b32 exec_lo, exec_lo, s10
	s_delay_alu instid0(SALU_CYCLE_1)
	s_and_b32 exec_lo, exec_lo, s1
	s_cbranch_execz .LBB0_162
; %bb.160:
	s_abs_i32 s1, s104
	v_mov_b32_e32 v7, 0
	s_cvt_f32_u32 s3, s1
	s_sub_co_i32 s5, 0, s1
	s_delay_alu instid0(VALU_DEP_1) | instskip(NEXT) | instid1(SALU_CYCLE_1)
	v_mov_b32_e32 v5, v7
	v_rcp_iflag_f32_e32 v1, s3
	s_delay_alu instid0(VALU_DEP_1) | instskip(NEXT) | instid1(TRANS32_DEP_1)
	v_lshl_add_u64 v[8:9], v[4:5], 2, s[6:7]
	v_readfirstlane_b32 s3, v1
	s_mul_f32 s3, s3, 0x4f7ffffe
	s_delay_alu instid0(SALU_CYCLE_3) | instskip(SKIP_1) | instid1(SALU_CYCLE_2)
	s_cvt_u32_f32 s4, s3
	s_ashr_i32 s3, s104, 31
	s_mul_i32 s5, s5, s4
	s_delay_alu instid0(SALU_CYCLE_1)
	s_mul_hi_u32 s10, s4, s5
	s_mov_b32 s5, 0
	s_add_co_i32 s4, s4, s10
	s_mov_b32 s10, s5
.LBB0_161:                              ; =>This Inner Loop Header: Depth=1
	v_add_nc_u32_e32 v1, 1, v4
	v_not_b32_e32 v3, v4
	v_add_nc_u32_e32 v4, 0x100, v4
	s_delay_alu instid0(VALU_DEP_2) | instskip(NEXT) | instid1(VALU_DEP_1)
	v_max_i32_e32 v6, v1, v3
	v_mul_u64_e32 v[10:11], s[4:5], v[6:7]
	s_delay_alu instid0(VALU_DEP_1) | instskip(SKIP_1) | instid1(VALU_DEP_1)
	v_mul_lo_u32 v3, v11, s1
	v_dual_add_nc_u32 v5, 1, v11 :: v_dual_ashrrev_i32 v10, 31, v1
	v_dual_sub_nc_u32 v3, v6, v3 :: v_dual_bitop2_b32 v10, s3, v10 bitop3:0x14
	s_delay_alu instid0(VALU_DEP_1) | instskip(SKIP_1) | instid1(VALU_DEP_4)
	v_subrev_nc_u32_e32 v6, s1, v3
	v_cmp_le_u32_e32 vcc_lo, s1, v3
	v_cndmask_b32_e32 v5, v11, v5, vcc_lo
	s_delay_alu instid0(VALU_DEP_1) | instskip(NEXT) | instid1(VALU_DEP_1)
	v_dual_cndmask_b32 v3, v3, v6 :: v_dual_add_nc_u32 v6, 1, v5
	v_cmp_le_u32_e32 vcc_lo, s1, v3
	s_delay_alu instid0(VALU_DEP_2) | instskip(NEXT) | instid1(VALU_DEP_1)
	v_cndmask_b32_e32 v3, v5, v6, vcc_lo
	v_xor_b32_e32 v3, v3, v10
	s_delay_alu instid0(VALU_DEP_1) | instskip(NEXT) | instid1(VALU_DEP_1)
	v_sub_nc_u32_e32 v3, v3, v10
	v_mul_lo_u32 v5, v3, s104
	s_delay_alu instid0(VALU_DEP_1) | instskip(NEXT) | instid1(VALU_DEP_1)
	v_dual_add_nc_u32 v3, s8, v3 :: v_dual_sub_nc_u32 v1, v1, v5
	v_cmp_eq_u32_e32 vcc_lo, 0, v1
	v_cndmask_b32_e64 v1, v1, s104, vcc_lo
	s_delay_alu instid0(VALU_DEP_3) | instskip(SKIP_1) | instid1(VALU_DEP_3)
	v_subrev_co_ci_u32_e64 v3, null, 0, v3, vcc_lo
	v_cmp_le_i32_e32 vcc_lo, s63, v4
	v_add_nc_u32_e32 v1, s9, v1
	s_or_b32 s10, vcc_lo, s10
	s_delay_alu instid0(VALU_DEP_1)
	v_mad_u32 v1, v3, s94, v1
	global_load_b32 v1, v1, s[36:37] scale_offset
	s_wait_loadcnt 0x0
	global_store_b32 v[8:9], v1, off
	s_wait_xcnt 0x0
	v_add_nc_u64_e32 v[8:9], 0x400, v[8:9]
	s_and_not1_b32 exec_lo, exec_lo, s10
	s_cbranch_execnz .LBB0_161
.LBB0_162:
	s_or_b32 exec_lo, exec_lo, s2
	s_wait_storecnt 0x0
	s_barrier_signal -1
	s_barrier_wait -1
	s_and_saveexec_b32 s1, s0
	s_cbranch_execz .LBB0_170
; %bb.163:
	v_mov_b32_e32 v4, v0
	s_mov_b32 s3, -1
	s_mov_b32 s2, exec_lo
	v_cmpx_lt_u32_e32 0x2ff, v12
	s_cbranch_execz .LBB0_167
; %bb.164:
	v_dual_lshrrev_b32 v1, 8, v12 :: v_dual_mov_b32 v5, 0
	s_mov_b32 s3, 0
	s_delay_alu instid0(VALU_DEP_1) | instskip(SKIP_1) | instid1(VALU_DEP_2)
	v_add_nc_u32_e32 v3, 1, v1
	v_add_nc_u32_e32 v1, 0x100, v0
	v_and_b32_e32 v8, 0x1fffffc, v3
	s_delay_alu instid0(VALU_DEP_2) | instskip(NEXT) | instid1(VALU_DEP_2)
	v_mov_b64_e32 v[6:7], v[0:1]
	v_mov_b32_e32 v9, v8
.LBB0_165:                              ; =>This Inner Loop Header: Depth=1
	s_delay_alu instid0(VALU_DEP_2) | instskip(NEXT) | instid1(VALU_DEP_3)
	v_dual_mov_b32 v4, v6 :: v_dual_mov_b32 v11, v5
	v_dual_mov_b32 v15, v5 :: v_dual_add_nc_u32 v10, 0x200, v7
	v_add_nc_u32_e32 v14, 0x200, v6
	s_delay_alu instid0(VALU_DEP_3) | instskip(SKIP_1) | instid1(VALU_DEP_4)
	v_lshlrev_b64_e32 v[16:17], 2, v[4:5]
	v_dual_mov_b32 v4, v7 :: v_dual_add_nc_u32 v9, -4, v9
	v_lshlrev_b64_e32 v[10:11], 2, v[10:11]
	s_delay_alu instid0(VALU_DEP_4) | instskip(SKIP_1) | instid1(VALU_DEP_4)
	v_lshlrev_b64_e32 v[14:15], 2, v[14:15]
	v_add_nc_u32_e32 v6, 0x400, v6
	v_lshlrev_b64_e32 v[18:19], 2, v[4:5]
	v_add_nc_u64_e32 v[20:21], s[40:41], v[16:17]
	v_add_nc_u64_e32 v[16:17], s[6:7], v[16:17]
	v_cmp_eq_u32_e32 vcc_lo, 0, v9
	v_add_nc_u64_e32 v[24:25], s[40:41], v[10:11]
	v_add_nc_u64_e32 v[22:23], s[40:41], v[14:15]
	;; [unrolled: 1-line block ×6, first 2 shown]
	v_add_nc_u32_e32 v7, 0x400, v7
	global_load_b32 v28, v[16:17], off
	s_clause 0x3
	global_load_b32 v20, v[20:21], off
	global_load_b32 v21, v[26:27], off
	;; [unrolled: 1-line block ×4, first 2 shown]
	s_clause 0x2
	global_load_b32 v29, v[18:19], off
	global_load_b32 v24, v[14:15], off
	;; [unrolled: 1-line block ×3, first 2 shown]
	s_or_b32 s3, vcc_lo, s3
	s_wait_loadcnt 0x2
	v_pk_add_f32 v[20:21], v[20:21], v[28:29] neg_lo:[0,1] neg_hi:[0,1]
	s_wait_loadcnt 0x0
	v_pk_add_f32 v[22:23], v[22:23], v[24:25] neg_lo:[0,1] neg_hi:[0,1]
	s_clause 0x3
	global_store_b32 v[16:17], v20, off
	global_store_b32 v[18:19], v21, off
	global_store_b32 v[14:15], v22, off
	global_store_b32 v[10:11], v23, off
	s_wait_xcnt 0x0
	s_and_not1_b32 exec_lo, exec_lo, s3
	s_cbranch_execnz .LBB0_165
; %bb.166:
	s_or_b32 exec_lo, exec_lo, s3
	v_cmp_ne_u32_e32 vcc_lo, v3, v8
	v_lshl_or_b32 v4, v8, 8, v0
	s_or_not1_b32 s3, vcc_lo, exec_lo
.LBB0_167:
	s_or_b32 exec_lo, exec_lo, s2
	s_delay_alu instid0(SALU_CYCLE_1)
	s_and_b32 exec_lo, exec_lo, s3
	s_cbranch_execz .LBB0_170
; %bb.168:
	v_mov_b32_e32 v5, 0
	s_mov_b32 s2, 0
	s_delay_alu instid0(VALU_DEP_1) | instskip(NEXT) | instid1(VALU_DEP_1)
	v_lshlrev_b64_e32 v[8:9], 2, v[4:5]
	v_add_nc_u64_e32 v[6:7], s[40:41], v[8:9]
	v_add_nc_u64_e32 v[8:9], s[6:7], v[8:9]
.LBB0_169:                              ; =>This Inner Loop Header: Depth=1
	global_load_b32 v1, v[6:7], off
	global_load_b32 v3, v[8:9], off
	v_add_nc_u32_e32 v4, 0x100, v4
	s_wait_xcnt 0x1
	v_add_nc_u64_e32 v[6:7], 0x400, v[6:7]
	s_wait_loadcnt 0x0
	v_sub_f32_e32 v1, v1, v3
	v_cmp_le_i32_e32 vcc_lo, s63, v4
	global_store_b32 v[8:9], v1, off
	s_wait_xcnt 0x0
	v_add_nc_u64_e32 v[8:9], 0x400, v[8:9]
	s_or_b32 s2, vcc_lo, s2
	s_delay_alu instid0(SALU_CYCLE_1)
	s_and_not1_b32 exec_lo, exec_lo, s2
	s_cbranch_execnz .LBB0_169
.LBB0_170:
	s_or_b32 exec_lo, exec_lo, s1
	s_cvt_f32_i32 s2, s58
	s_wait_storecnt 0x0
	s_barrier_signal -1
	s_barrier_wait -1
	s_and_saveexec_b32 s8, s0
	s_cbranch_execz .LBB0_178
; %bb.171:
	v_mov_b32_e32 v4, v0
	s_mov_b32 s1, -1
	s_mov_b32 s9, exec_lo
	v_cmpx_lt_u32_e32 0xff, v12
	s_cbranch_execz .LBB0_175
; %bb.172:
	v_dual_lshrrev_b32 v1, 8, v12 :: v_dual_mov_b32 v5, 0
	s_mov_b32 s10, s2
	s_mov_b32 s3, 0
	s_delay_alu instid0(VALU_DEP_1) | instskip(SKIP_1) | instid1(VALU_DEP_2)
	v_add_nc_u32_e32 v3, 1, v1
	v_add_nc_u32_e32 v1, 0x100, v0
	v_and_b32_e32 v8, 0x1fffffe, v3
	s_delay_alu instid0(VALU_DEP_2) | instskip(NEXT) | instid1(VALU_DEP_2)
	v_mov_b64_e32 v[6:7], v[0:1]
	v_mov_b32_e32 v9, v8
.LBB0_173:                              ; =>This Inner Loop Header: Depth=1
	s_delay_alu instid0(VALU_DEP_2) | instskip(SKIP_1) | instid1(VALU_DEP_3)
	v_mov_b32_e32 v4, v6
	v_add_nc_u32_e32 v6, 0x200, v6
	v_add_nc_u32_e32 v9, -2, v9
	s_delay_alu instid0(VALU_DEP_3) | instskip(SKIP_1) | instid1(VALU_DEP_1)
	v_lshlrev_b64_e32 v[10:11], 2, v[4:5]
	v_dual_mov_b32 v4, v7 :: v_dual_add_nc_u32 v7, 0x200, v7
	v_lshlrev_b64_e32 v[14:15], 2, v[4:5]
	s_delay_alu instid0(VALU_DEP_3) | instskip(SKIP_1) | instid1(VALU_DEP_3)
	v_add_nc_u64_e32 v[16:17], s[24:25], v[10:11]
	v_add_nc_u64_e32 v[10:11], s[6:7], v[10:11]
	;; [unrolled: 1-line block ×3, first 2 shown]
	s_clause 0x1
	global_load_b32 v16, v[16:17], off
	global_load_b32 v17, v[18:19], off
	v_add_nc_u64_e32 v[14:15], s[6:7], v[14:15]
	s_clause 0x1
	global_load_b32 v18, v[10:11], off
	global_load_b32 v19, v[14:15], off
	s_wait_loadcnt 0x2
	v_pk_mul_f32 v[16:17], v[16:17], v[16:17]
	s_delay_alu instid0(VALU_DEP_1) | instskip(NEXT) | instid1(VALU_DEP_2)
	v_div_scale_f32 v1, null, s10, s10, v17
	v_div_scale_f32 v13, null, s2, s2, v16
	v_div_scale_f32 v4, vcc_lo, v17, s10, v17
	s_delay_alu instid0(VALU_DEP_3) | instskip(NEXT) | instid1(VALU_DEP_2)
	v_rcp_f32_e32 v21, v1
	v_rcp_f32_e32 v22, v13
	v_div_scale_f32 v20, s1, v16, s2, v16
	s_delay_alu instid0(TRANS32_DEP_2) | instskip(NEXT) | instid1(TRANS32_DEP_1)
	v_fma_f32 v23, -v1, v21, 1.0
	v_fma_f32 v24, -v13, v22, 1.0
	s_delay_alu instid0(VALU_DEP_1) | instskip(NEXT) | instid1(VALU_DEP_1)
	v_dual_fmac_f32 v21, v23, v21 :: v_dual_fmac_f32 v22, v24, v22
	v_mul_f32_e32 v24, v20, v22
	s_delay_alu instid0(VALU_DEP_1) | instskip(NEXT) | instid1(VALU_DEP_1)
	v_dual_mul_f32 v23, v4, v21 :: v_dual_fma_f32 v26, -v13, v24, v20
	v_fma_f32 v25, -v1, v23, v4
	s_delay_alu instid0(VALU_DEP_1) | instskip(NEXT) | instid1(VALU_DEP_1)
	v_dual_fmac_f32 v24, v26, v22 :: v_dual_fmac_f32 v23, v25, v21
	v_fma_f32 v1, -v1, v23, v4
	s_delay_alu instid0(VALU_DEP_2) | instskip(NEXT) | instid1(VALU_DEP_2)
	v_fma_f32 v4, -v13, v24, v20
	v_div_fmas_f32 v1, v1, v21, v23
	s_mov_b32 vcc_lo, s1
	s_delay_alu instid0(VALU_DEP_2) | instskip(NEXT) | instid1(VALU_DEP_2)
	v_div_fmas_f32 v4, v4, v22, v24
	v_div_fixup_f32 v17, v1, s10, v17
	s_delay_alu instid0(VALU_DEP_2) | instskip(SKIP_1) | instid1(VALU_DEP_1)
	v_div_fixup_f32 v16, v4, s2, v16
	s_wait_loadcnt 0x0
	v_pk_add_f32 v[16:17], v[18:19], v[16:17] neg_lo:[0,1] neg_hi:[0,1]
	s_delay_alu instid0(VALU_DEP_1) | instskip(SKIP_1) | instid1(VALU_DEP_3)
	v_cmp_ngt_f32_e32 vcc_lo, 0, v16
	v_cndmask_b32_e32 v1, 0, v16, vcc_lo
	v_cmp_ngt_f32_e32 vcc_lo, 0, v17
	v_cndmask_b32_e32 v4, 0, v17, vcc_lo
	s_delay_alu instid0(VALU_DEP_1) | instskip(SKIP_1) | instid1(VALU_DEP_2)
	v_mul_f32_e32 v16, 0x4f800000, v4
	v_cmp_gt_f32_e32 vcc_lo, 0xf800000, v4
	v_cndmask_b32_e32 v4, v4, v16, vcc_lo
	v_cmp_gt_f32_e64 s1, 0xf800000, v1
	s_delay_alu instid0(VALU_DEP_2) | instskip(SKIP_1) | instid1(TRANS32_DEP_1)
	v_sqrt_f32_e32 v16, v4
	v_nop
	v_dual_mul_f32 v13, 0x4f800000, v1 :: v_dual_add_nc_u32 v18, -1, v16
	s_delay_alu instid0(VALU_DEP_1) | instskip(NEXT) | instid1(VALU_DEP_2)
	v_dual_cndmask_b32 v1, v1, v13, s1 :: v_dual_add_nc_u32 v19, 1, v16
	v_fma_f32 v22, -v18, v16, v4
	s_delay_alu instid0(VALU_DEP_2) | instskip(SKIP_1) | instid1(TRANS32_DEP_1)
	v_sqrt_f32_e32 v13, v1
	v_nop
	v_dual_fma_f32 v23, -v19, v16, v4 :: v_dual_add_nc_u32 v17, -1, v13
	s_delay_alu instid0(VALU_DEP_1) | instskip(NEXT) | instid1(VALU_DEP_1)
	v_dual_add_nc_u32 v20, 1, v13 :: v_dual_fma_f32 v21, -v17, v13, v1
	v_fma_f32 v24, -v20, v13, v1
	s_delay_alu instid0(VALU_DEP_2) | instskip(NEXT) | instid1(VALU_DEP_2)
	v_cmp_ge_f32_e64 s4, 0, v21
	v_cmp_lt_f32_e64 s5, 0, v24
	s_delay_alu instid0(VALU_DEP_2) | instskip(SKIP_1) | instid1(VALU_DEP_1)
	v_cndmask_b32_e64 v13, v13, v17, s4
	v_cmp_ge_f32_e64 s4, 0, v22
	v_cndmask_b32_e64 v16, v16, v18, s4
	v_cmp_lt_f32_e64 s4, 0, v23
	s_delay_alu instid0(VALU_DEP_4) | instskip(NEXT) | instid1(VALU_DEP_1)
	v_cndmask_b32_e64 v13, v13, v20, s5
	v_mul_f32_e32 v17, 0x37800000, v13
	s_delay_alu instid0(VALU_DEP_3) | instskip(SKIP_1) | instid1(VALU_DEP_3)
	v_cndmask_b32_e64 v16, v16, v19, s4
	v_cmp_class_f32_e64 s4, v1, 0x260
	v_cndmask_b32_e64 v13, v13, v17, s1
	s_delay_alu instid0(VALU_DEP_3) | instskip(SKIP_1) | instid1(VALU_DEP_2)
	v_mul_f32_e32 v18, 0x37800000, v16
	v_cmp_class_f32_e64 s1, v4, 0x260
	v_dual_cndmask_b32 v1, v13, v1, s4 :: v_dual_cndmask_b32 v16, v16, v18, vcc_lo
	v_cmp_eq_u32_e32 vcc_lo, 0, v9
	s_delay_alu instid0(VALU_DEP_2)
	v_cndmask_b32_e64 v4, v16, v4, s1
	s_or_b32 s3, vcc_lo, s3
	s_clause 0x1
	global_store_b32 v[10:11], v1, off
	global_store_b32 v[14:15], v4, off
	s_wait_xcnt 0x0
	s_and_not1_b32 exec_lo, exec_lo, s3
	s_cbranch_execnz .LBB0_173
; %bb.174:
	s_or_b32 exec_lo, exec_lo, s3
	v_cmp_ne_u32_e32 vcc_lo, v3, v8
	v_lshl_add_u32 v4, v8, 8, v0
	s_or_not1_b32 s1, vcc_lo, exec_lo
.LBB0_175:
	s_or_b32 exec_lo, exec_lo, s9
	s_delay_alu instid0(SALU_CYCLE_1)
	s_and_b32 exec_lo, exec_lo, s1
	s_cbranch_execz .LBB0_178
; %bb.176:
	v_mov_b32_e32 v5, 0
	s_mov_b32 s3, 0
	s_delay_alu instid0(VALU_DEP_1) | instskip(NEXT) | instid1(VALU_DEP_1)
	v_lshlrev_b64_e32 v[8:9], 2, v[4:5]
	v_add_nc_u64_e32 v[6:7], s[24:25], v[8:9]
	v_add_nc_u64_e32 v[8:9], s[6:7], v[8:9]
.LBB0_177:                              ; =>This Inner Loop Header: Depth=1
	global_load_b32 v1, v[6:7], off
	global_load_b32 v3, v[8:9], off
	s_wait_xcnt 0x1
	v_add_nc_u64_e32 v[6:7], 0x400, v[6:7]
	s_wait_loadcnt 0x1
	v_dual_mul_f32 v1, v1, v1 :: v_dual_add_nc_u32 v4, 0x100, v4
	s_delay_alu instid0(VALU_DEP_1) | instskip(NEXT) | instid1(VALU_DEP_1)
	v_div_scale_f32 v5, null, s2, s2, v1
	v_rcp_f32_e32 v10, v5
	v_nop
	s_delay_alu instid0(TRANS32_DEP_1) | instskip(NEXT) | instid1(VALU_DEP_1)
	v_fma_f32 v11, -v5, v10, 1.0
	v_fmac_f32_e32 v10, v11, v10
	v_div_scale_f32 v13, vcc_lo, v1, s2, v1
	s_delay_alu instid0(VALU_DEP_1) | instskip(NEXT) | instid1(VALU_DEP_1)
	v_mul_f32_e32 v11, v13, v10
	v_fma_f32 v14, -v5, v11, v13
	s_delay_alu instid0(VALU_DEP_1) | instskip(NEXT) | instid1(VALU_DEP_1)
	v_fmac_f32_e32 v11, v14, v10
	v_fma_f32 v5, -v5, v11, v13
	s_delay_alu instid0(VALU_DEP_1) | instskip(NEXT) | instid1(VALU_DEP_1)
	v_div_fmas_f32 v5, v5, v10, v11
	v_div_fixup_f32 v1, v5, s2, v1
	s_wait_loadcnt 0x0
	s_delay_alu instid0(VALU_DEP_1) | instskip(NEXT) | instid1(VALU_DEP_1)
	v_sub_f32_e32 v1, v3, v1
	v_cmp_ngt_f32_e32 vcc_lo, 0, v1
	v_cndmask_b32_e32 v1, 0, v1, vcc_lo
	s_delay_alu instid0(VALU_DEP_1) | instskip(SKIP_1) | instid1(VALU_DEP_2)
	v_mul_f32_e32 v3, 0x4f800000, v1
	v_cmp_gt_f32_e32 vcc_lo, 0xf800000, v1
	v_cndmask_b32_e32 v1, v1, v3, vcc_lo
	s_delay_alu instid0(VALU_DEP_1) | instskip(SKIP_1) | instid1(TRANS32_DEP_1)
	v_sqrt_f32_e32 v3, v1
	v_nop
	v_dual_add_nc_u32 v5, -1, v3 :: v_dual_add_nc_u32 v10, 1, v3
	s_delay_alu instid0(VALU_DEP_1) | instskip(NEXT) | instid1(VALU_DEP_1)
	v_fma_f32 v11, -v5, v3, v1
	v_cmp_ge_f32_e64 s1, 0, v11
	s_delay_alu instid0(VALU_DEP_1) | instskip(NEXT) | instid1(VALU_DEP_1)
	v_dual_fma_f32 v13, -v10, v3, v1 :: v_dual_cndmask_b32 v3, v3, v5, s1
	v_cmp_lt_f32_e64 s1, 0, v13
	s_delay_alu instid0(VALU_DEP_1) | instskip(NEXT) | instid1(VALU_DEP_1)
	v_cndmask_b32_e64 v3, v3, v10, s1
	v_mul_f32_e32 v5, 0x37800000, v3
	s_delay_alu instid0(VALU_DEP_1) | instskip(SKIP_1) | instid1(VALU_DEP_2)
	v_cndmask_b32_e32 v3, v3, v5, vcc_lo
	v_cmp_class_f32_e64 vcc_lo, v1, 0x260
	v_cndmask_b32_e32 v1, v3, v1, vcc_lo
	v_cmp_le_i32_e32 vcc_lo, s63, v4
	global_store_b32 v[8:9], v1, off
	s_wait_xcnt 0x0
	v_add_nc_u64_e32 v[8:9], 0x400, v[8:9]
	s_or_b32 s3, vcc_lo, s3
	s_delay_alu instid0(SALU_CYCLE_1)
	s_and_not1_b32 exec_lo, exec_lo, s3
	s_cbranch_execnz .LBB0_177
.LBB0_178:
	s_or_b32 exec_lo, exec_lo, s8
	s_mul_i32 s8, s74, s98
	s_mov_b32 s1, exec_lo
	s_ashr_i32 s9, s8, 31
	s_wait_storecnt 0x0
	s_barrier_signal -1
	s_barrier_wait -1
	v_cmpx_gt_i32_e64 s74, v0
	s_cbranch_execz .LBB0_186
; %bb.179:
	v_xad_u32 v1, v0, -1, s74
	v_mov_b32_e32 v4, v0
	s_mov_b32 s4, -1
	s_mov_b32 s3, exec_lo
	s_delay_alu instid0(VALU_DEP_2)
	v_cmpx_lt_u32_e32 0xff, v1
	s_cbranch_execz .LBB0_183
; %bb.180:
	v_dual_lshrrev_b32 v1, 8, v1 :: v_dual_mov_b32 v5, 0
	s_lshl_b64 s[4:5], s[8:9], 2
	s_mov_b32 s10, 0
	s_add_nc_u64 s[4:5], s[30:31], s[4:5]
	s_delay_alu instid0(VALU_DEP_1) | instskip(SKIP_1) | instid1(VALU_DEP_2)
	v_add_nc_u32_e32 v3, 1, v1
	v_add_nc_u32_e32 v1, 0x100, v0
	v_and_b32_e32 v8, 0x1fffffe, v3
	s_delay_alu instid0(VALU_DEP_2) | instskip(NEXT) | instid1(VALU_DEP_2)
	v_mov_b64_e32 v[6:7], v[0:1]
	v_mov_b32_e32 v9, v8
.LBB0_181:                              ; =>This Inner Loop Header: Depth=1
	s_delay_alu instid0(VALU_DEP_1) | instskip(SKIP_1) | instid1(VALU_DEP_2)
	v_dual_mov_b32 v4, v6 :: v_dual_add_nc_u32 v9, -2, v9
	v_add_nc_u32_e32 v6, 0x200, v6
	v_lshlrev_b64_e32 v[10:11], 2, v[4:5]
	v_dual_mov_b32 v4, v7 :: v_dual_add_nc_u32 v7, 0x200, v7
	s_delay_alu instid0(VALU_DEP_4) | instskip(NEXT) | instid1(VALU_DEP_2)
	v_cmp_eq_u32_e32 vcc_lo, 0, v9
	v_lshlrev_b64_e32 v[14:15], 2, v[4:5]
	s_delay_alu instid0(VALU_DEP_4) | instskip(SKIP_2) | instid1(VALU_DEP_3)
	v_add_nc_u64_e32 v[16:17], s[14:15], v[10:11]
	v_add_nc_u64_e32 v[10:11], s[4:5], v[10:11]
	s_or_b32 s10, vcc_lo, s10
	v_add_nc_u64_e32 v[18:19], s[14:15], v[14:15]
	v_add_nc_u64_e32 v[14:15], s[4:5], v[14:15]
	s_clause 0x1
	global_load_b32 v16, v[16:17], off
	global_load_b32 v17, v[18:19], off
	s_wait_loadcnt 0x0
	v_pk_mul_f32 v[16:17], v[16:17], v[16:17]
	s_clause 0x1
	global_store_b32 v[10:11], v16, off
	global_store_b32 v[14:15], v17, off
	s_wait_xcnt 0x0
	s_and_not1_b32 exec_lo, exec_lo, s10
	s_cbranch_execnz .LBB0_181
; %bb.182:
	s_or_b32 exec_lo, exec_lo, s10
	v_cmp_ne_u32_e32 vcc_lo, v3, v8
	v_lshl_add_u32 v4, v8, 8, v0
	s_or_not1_b32 s4, vcc_lo, exec_lo
.LBB0_183:
	s_or_b32 exec_lo, exec_lo, s3
	s_delay_alu instid0(SALU_CYCLE_1)
	s_and_b32 exec_lo, exec_lo, s4
	s_cbranch_execz .LBB0_186
; %bb.184:
	v_mov_b32_e32 v5, 0
	s_lshl_b64 s[4:5], s[8:9], 2
	s_mov_b32 s3, 0
	s_add_nc_u64 s[4:5], s[30:31], s[4:5]
	s_delay_alu instid0(VALU_DEP_1) | instskip(NEXT) | instid1(VALU_DEP_1)
	v_lshlrev_b64_e32 v[8:9], 2, v[4:5]
	v_add_nc_u64_e32 v[6:7], s[14:15], v[8:9]
	v_add_nc_u64_e32 v[8:9], s[4:5], v[8:9]
.LBB0_185:                              ; =>This Inner Loop Header: Depth=1
	global_load_b32 v1, v[6:7], off
	v_add_nc_u32_e32 v4, 0x100, v4
	s_wait_xcnt 0x0
	v_add_nc_u64_e32 v[6:7], 0x400, v[6:7]
	s_wait_loadcnt 0x0
	v_mul_f32_e32 v1, v1, v1
	v_cmp_le_i32_e32 vcc_lo, s74, v4
	global_store_b32 v[8:9], v1, off
	s_wait_xcnt 0x0
	v_add_nc_u64_e32 v[8:9], 0x400, v[8:9]
	s_or_b32 s3, vcc_lo, s3
	s_delay_alu instid0(SALU_CYCLE_1)
	s_and_not1_b32 exec_lo, exec_lo, s3
	s_cbranch_execnz .LBB0_185
.LBB0_186:
	s_or_b32 exec_lo, exec_lo, s1
	s_mul_i32 s4, s57, s98
	s_mov_b32 s1, exec_lo
	s_ashr_i32 s5, s4, 31
	s_wait_storecnt 0x0
	s_lshl_b64 s[4:5], s[4:5], 2
	s_barrier_signal -1
	s_add_nc_u64 s[4:5], s[16:17], s[4:5]
	s_barrier_wait -1
	v_cmpx_gt_i32_e64 s57, v0
	s_cbranch_execz .LBB0_192
; %bb.187:
	v_mul_lo_u32 v4, v0, s56
	v_dual_mov_b32 v5, 0 :: v_dual_mov_b32 v1, v0
	s_cmp_gt_i32 s56, 0
	s_mov_b32 s10, 0
	s_cselect_b32 s3, -1, 0
	s_lshl_b32 s11, s56, 8
	s_branch .LBB0_189
.LBB0_188:                              ;   in Loop: Header=BB0_189 Depth=1
	global_store_b32 v1, v3, s[4:5] scale_offset
	s_wait_xcnt 0x0
	v_add_nc_u32_e32 v1, 0x100, v1
	v_add_nc_u32_e32 v4, s11, v4
	s_delay_alu instid0(VALU_DEP_2) | instskip(SKIP_1) | instid1(SALU_CYCLE_1)
	v_cmp_le_i32_e32 vcc_lo, s57, v1
	s_or_b32 s10, vcc_lo, s10
	s_and_not1_b32 exec_lo, exec_lo, s10
	s_cbranch_execz .LBB0_192
.LBB0_189:                              ; =>This Loop Header: Depth=1
                                        ;     Child Loop BB0_191 Depth 2
	v_mov_b32_e32 v3, 0
	s_and_not1_b32 vcc_lo, exec_lo, s3
	s_cbranch_vccnz .LBB0_188
; %bb.190:                              ;   in Loop: Header=BB0_189 Depth=1
	s_delay_alu instid0(VALU_DEP_3)
	v_lshl_add_u64 v[6:7], v[4:5], 2, s[14:15]
	v_mov_b32_e32 v3, 0
	s_mov_b32 s16, s56
.LBB0_191:                              ;   Parent Loop BB0_189 Depth=1
                                        ; =>  This Inner Loop Header: Depth=2
	global_load_b32 v8, v[6:7], off
	s_wait_xcnt 0x0
	v_add_nc_u64_e32 v[6:7], 4, v[6:7]
	s_add_co_i32 s16, s16, -1
	s_delay_alu instid0(SALU_CYCLE_1)
	s_cmp_lg_u32 s16, 0
	s_wait_loadcnt 0x0
	v_add_f32_e32 v3, v3, v8
	s_cbranch_scc1 .LBB0_191
	s_branch .LBB0_188
.LBB0_192:
	s_or_b32 exec_lo, exec_lo, s1
	s_mul_i32 s10, s72, s98
	s_mov_b32 s1, exec_lo
	s_ashr_i32 s11, s10, 31
	s_wait_storecnt 0x0
	s_lshl_b64 s[10:11], s[10:11], 2
	s_barrier_signal -1
	s_add_nc_u64 s[10:11], s[18:19], s[10:11]
	s_barrier_wait -1
	v_cmpx_gt_i32_e64 s72, v0
	s_cbranch_execz .LBB0_198
; %bb.193:
	s_cmp_gt_i32 s73, 0
	v_dual_mov_b32 v3, 0 :: v_dual_mov_b32 v1, v0
	s_cselect_b32 s3, -1, 0
	s_lshl_b64 s[8:9], s[8:9], 2
	s_mov_b32 s16, 0
	s_add_nc_u64 s[8:9], s[30:31], s[8:9]
	s_delay_alu instid0(SALU_CYCLE_1) | instskip(SKIP_2) | instid1(SALU_CYCLE_1)
	v_add_nc_u64_e32 v[4:5], s[8:9], v[2:3]
	s_ashr_i32 s9, s72, 31
	s_mov_b32 s8, s72
	s_lshl_b64 s[8:9], s[8:9], 2
	s_branch .LBB0_195
.LBB0_194:                              ;   in Loop: Header=BB0_195 Depth=1
	global_store_b32 v1, v3, s[10:11] scale_offset
	s_wait_xcnt 0x0
	v_add_nc_u32_e32 v1, 0x100, v1
	v_add_nc_u64_e32 v[4:5], 0x400, v[4:5]
	s_delay_alu instid0(VALU_DEP_2) | instskip(SKIP_1) | instid1(SALU_CYCLE_1)
	v_cmp_le_i32_e32 vcc_lo, s72, v1
	s_or_b32 s16, vcc_lo, s16
	s_and_not1_b32 exec_lo, exec_lo, s16
	s_cbranch_execz .LBB0_198
.LBB0_195:                              ; =>This Loop Header: Depth=1
                                        ;     Child Loop BB0_197 Depth 2
	v_mov_b32_e32 v3, 0
	s_and_not1_b32 vcc_lo, exec_lo, s3
	s_cbranch_vccnz .LBB0_194
; %bb.196:                              ;   in Loop: Header=BB0_195 Depth=1
	v_mov_b64_e32 v[6:7], v[4:5]
	v_mov_b32_e32 v3, 0
	s_mov_b32 s17, s73
.LBB0_197:                              ;   Parent Loop BB0_195 Depth=1
                                        ; =>  This Inner Loop Header: Depth=2
	global_load_b32 v8, v[6:7], off
	s_wait_xcnt 0x0
	v_add_nc_u64_e32 v[6:7], s[8:9], v[6:7]
	s_add_co_i32 s17, s17, -1
	s_delay_alu instid0(SALU_CYCLE_1)
	s_cmp_lg_u32 s17, 0
	s_wait_loadcnt 0x0
	v_add_f32_e32 v3, v3, v8
	s_cbranch_scc1 .LBB0_197
	s_branch .LBB0_194
.LBB0_198:
	s_or_b32 exec_lo, exec_lo, s1
	v_readlane_b32 s28, v34, 10
	v_readlane_b32 s30, v34, 12
	;; [unrolled: 1-line block ×3, first 2 shown]
	s_ashr_i32 s99, s98, 31
	v_cmp_eq_u32_e64 s1, 0, v0
	v_readlane_b32 s29, v34, 11
	s_lshl_b64 s[18:19], s[98:99], 2
	s_mov_b32 s3, exec_lo
	s_add_nc_u64 s[16:17], s[30:31], s[18:19]
	s_wait_storecnt 0x0
	s_barrier_signal -1
	s_barrier_wait -1
	v_cmpx_ne_u32_e32 0, v0
	s_xor_b32 s3, exec_lo, s3
	s_cbranch_execz .LBB0_205
; %bb.199:
	s_mov_b32 s8, exec_lo
	v_cmpx_eq_u32_e32 1, v0
	s_cbranch_execz .LBB0_204
; %bb.200:
	v_mov_b32_e32 v1, 0
	s_cmp_lt_i32 s73, 1
	global_store_b32 v1, v1, s[16:17]
	s_cbranch_scc1 .LBB0_204
; %bb.201:
	v_mov_b32_e32 v3, 0
.LBB0_202:                              ; =>This Inner Loop Header: Depth=1
	global_load_b32 v4, v1, s[10:11]
	s_add_co_i32 s73, s73, -1
	s_wait_xcnt 0x0
	s_add_nc_u64 s[10:11], s[10:11], 4
	s_cmp_eq_u32 s73, 0
	s_wait_loadcnt 0x0
	v_add_f32_e32 v3, v3, v4
	s_cbranch_scc0 .LBB0_202
; %bb.203:
	v_mov_b32_e32 v1, 0
	global_store_b32 v1, v3, s[16:17]
.LBB0_204:
	s_wait_xcnt 0x0
	s_or_b32 exec_lo, exec_lo, s8
.LBB0_205:
	s_or_saveexec_b32 s3, s3
	v_readlane_b32 s36, v34, 14
	v_readlane_b32 s37, v34, 15
	;; [unrolled: 1-line block ×4, first 2 shown]
	s_add_nc_u64 s[8:9], s[28:29], s[18:19]
	s_xor_b32 exec_lo, exec_lo, s3
	s_cbranch_execz .LBB0_210
; %bb.206:
	v_mov_b32_e32 v1, 0
	s_cmp_lt_i32 s57, 1
	global_store_b32 v1, v1, s[8:9]
	s_cbranch_scc1 .LBB0_210
; %bb.207:
	v_mov_b32_e32 v3, 0
	s_mov_b32 s10, s57
.LBB0_208:                              ; =>This Inner Loop Header: Depth=1
	global_load_b32 v4, v1, s[4:5]
	s_add_co_i32 s10, s10, -1
	s_wait_xcnt 0x0
	s_add_nc_u64 s[4:5], s[4:5], 4
	s_cmp_eq_u32 s10, 0
	s_wait_loadcnt 0x0
	v_add_f32_e32 v3, v3, v4
	s_cbranch_scc0 .LBB0_208
; %bb.209:
	v_mov_b32_e32 v1, 0
	global_store_b32 v1, v3, s[8:9]
.LBB0_210:
	s_wait_xcnt 0x0
	s_or_b32 exec_lo, exec_lo, s3
	v_readlane_b32 s4, v34, 8
	v_readlane_b32 s5, v34, 9
	s_wait_storecnt 0x0
	s_barrier_signal -1
	s_barrier_wait -1
	s_add_nc_u64 s[10:11], s[4:5], s[18:19]
	s_and_saveexec_b32 s3, s1
	s_cbranch_execz .LBB0_212
; %bb.211:
	v_mov_b32_e32 v1, 0
	s_add_co_i32 s4, s58, -1
	s_clause 0x1
	global_load_b32 v3, v1, s[8:9]
	global_load_b32 v4, v1, s[16:17]
	s_cvt_f32_i32 s5, s4
	s_delay_alu instid0(SALU_CYCLE_3) | instskip(SKIP_2) | instid1(SALU_CYCLE_1)
	s_mul_f32 s4, s5, 0x4f800000
	s_cmp_lt_f32 s5, 0xf800000
	s_wait_xcnt 0x0
	s_cselect_b32 s16, s4, s5
	s_delay_alu instid0(SALU_CYCLE_1) | instskip(SKIP_2) | instid1(TRANS32_DEP_1)
	v_s_sqrt_f32 s17, s16
	s_mov_b32 s19, s16
	s_mov_b32 s26, s16
	s_add_co_i32 s18, s17, -1
	s_delay_alu instid0(SALU_CYCLE_1) | instskip(NEXT) | instid1(SALU_CYCLE_1)
	s_xor_b32 s4, s18, 0x80000000
	s_fmac_f32 s19, s4, s17
	s_delay_alu instid0(SALU_CYCLE_3) | instskip(SKIP_2) | instid1(SALU_CYCLE_1)
	s_cmp_le_f32 s19, 0
	s_cselect_b32 s18, s18, s17
	s_add_co_i32 s19, s17, 1
	s_xor_b32 s27, s19, 0x80000000
	s_delay_alu instid0(SALU_CYCLE_1) | instskip(NEXT) | instid1(SALU_CYCLE_3)
	s_fmac_f32 s26, s27, s17
	s_cmp_gt_f32 s26, 0
	s_wait_loadcnt 0x1
	v_div_scale_f32 v5, null, s2, s2, v3
	s_wait_loadcnt 0x0
	v_div_scale_f32 v6, null, s2, s2, v4
	v_div_scale_f32 v11, vcc_lo, v3, s2, v3
	s_delay_alu instid0(VALU_DEP_3)
	v_rcp_f32_e32 v7, v5
	v_nop
	v_xor_b32_e32 v5, 0x80000000, v5
	v_rcp_f32_e32 v8, v6
	v_nop
	v_xor_b32_e32 v6, 0x80000000, v6
	s_delay_alu instid0(TRANS32_DEP_2) | instid1(VALU_DEP_3)
	v_fma_f32 v9, v5, v7, 1.0
	s_delay_alu instid0(TRANS32_DEP_1) | instid1(VALU_DEP_2)
	v_fma_f32 v10, v6, v8, 1.0
	s_delay_alu instid0(VALU_DEP_2) | instskip(SKIP_1) | instid1(VALU_DEP_2)
	v_fmac_f32_e32 v7, v9, v7
	v_div_scale_f32 v9, s4, v4, s2, v4
	v_dual_fmac_f32 v8, v10, v8 :: v_dual_mul_f32 v10, v11, v7
	s_delay_alu instid0(VALU_DEP_1) | instskip(NEXT) | instid1(VALU_DEP_1)
	v_fma_f32 v14, v5, v10, v11
	v_dual_mul_f32 v13, v9, v8 :: v_dual_fmac_f32 v10, v14, v7
	s_delay_alu instid0(VALU_DEP_1) | instskip(NEXT) | instid1(VALU_DEP_1)
	v_dual_fma_f32 v15, v6, v13, v9 :: v_dual_fmac_f32 v11, v5, v10
	v_fmac_f32_e32 v13, v15, v8
	s_delay_alu instid0(VALU_DEP_2) | instskip(NEXT) | instid1(VALU_DEP_2)
	v_div_fmas_f32 v5, v11, v7, v10
	v_fmac_f32_e32 v9, v6, v13
	s_mov_b32 vcc_lo, s4
	s_cselect_b32 s4, s19, s18
	s_cmp_lt_f32 s5, 0xf800000
	v_div_fixup_f32 v3, v5, s2, v3
	v_div_fmas_f32 v6, v9, v8, v13
	s_mul_f32 s5, s4, 0x37800000
	s_delay_alu instid0(VALU_DEP_2) | instskip(NEXT) | instid1(VALU_DEP_2)
	v_readfirstlane_b32 s17, v3
	v_div_fixup_f32 v4, v6, s2, v4
	s_delay_alu instid0(SALU_CYCLE_1) | instskip(SKIP_1) | instid1(VALU_DEP_1)
	s_cselect_b32 s4, s5, s4
	s_xor_b32 s5, s17, 0x80000000
	v_readfirstlane_b32 s18, v4
	s_fmac_f32 s18, s5, s17
	s_delay_alu instid0(SALU_CYCLE_3) | instskip(SKIP_1) | instid1(SALU_CYCLE_2)
	s_mul_f32 s5, s18, 0x4f800000
	s_cmp_lt_f32 s18, 0xf800000
	s_cselect_b32 s5, s5, s18
	s_delay_alu instid0(SALU_CYCLE_1) | instskip(SKIP_1) | instid1(TRANS32_DEP_1)
	v_s_sqrt_f32 s17, s5
	s_mov_b32 s26, s5
	s_add_co_i32 s19, s17, -1
	s_delay_alu instid0(SALU_CYCLE_1) | instskip(NEXT) | instid1(SALU_CYCLE_1)
	s_xor_b32 s27, s19, 0x80000000
	s_fmac_f32 s26, s27, s17
	s_mov_b32 s27, s5
	s_delay_alu instid0(SALU_CYCLE_2) | instskip(SKIP_2) | instid1(SALU_CYCLE_1)
	s_cmp_le_f32 s26, 0
	s_cselect_b32 s19, s19, s17
	s_add_co_i32 s26, s17, 1
	s_xor_b32 s28, s26, 0x80000000
	s_delay_alu instid0(SALU_CYCLE_1) | instskip(SKIP_1) | instid1(SALU_CYCLE_2)
	s_fmac_f32 s27, s28, s17
	v_cmp_class_f32_e64 s17, s5, 0x260
	s_cmp_gt_f32 s27, 0
	s_cselect_b32 s19, s26, s19
	s_cmp_lt_f32 s18, 0xf800000
	s_mul_f32 s18, s19, 0x37800000
	v_cmp_class_f32_e64 s26, s16, 0x260
	s_delay_alu instid0(SALU_CYCLE_2) | instskip(SKIP_4) | instid1(SALU_CYCLE_1)
	s_cselect_b32 s18, s18, s19
	s_and_b32 s17, s17, exec_lo
	s_cselect_b32 s5, s5, s18
	s_and_b32 s17, s26, exec_lo
	s_cselect_b32 s4, s16, s4
	s_mul_f32 s4, s4, s5
	s_delay_alu instid0(SALU_CYCLE_3)
	v_mov_b32_e32 v3, s4
	global_store_b32 v1, v3, s[10:11]
.LBB0_212:
	s_wait_xcnt 0x0
	s_or_b32 exec_lo, exec_lo, s3
	s_wait_storecnt 0x0
	s_barrier_signal -1
	s_barrier_wait -1
	s_and_saveexec_b32 s3, s0
	s_cbranch_execz .LBB0_220
; %bb.213:
	v_dual_mov_b32 v7, 0 :: v_dual_mov_b32 v6, v0
	s_mov_b32 s5, -1
	s_mov_b32 s4, exec_lo
	global_load_b32 v4, v7, s[10:11]
	s_wait_xcnt 0x0
	v_cmpx_lt_u32_e32 0xff, v12
	s_cbranch_execz .LBB0_217
; %bb.214:
	s_wait_loadcnt 0x0
	v_dual_lshrrev_b32 v1, 8, v12 :: v_dual_mov_b32 v5, v4
	s_mov_b32 s5, 0
	s_delay_alu instid0(VALU_DEP_1) | instskip(SKIP_1) | instid1(VALU_DEP_2)
	v_add_nc_u32_e32 v3, 1, v1
	v_add_nc_u32_e32 v1, 0x100, v0
	v_and_b32_e32 v10, 0x1fffffe, v3
	s_delay_alu instid0(VALU_DEP_2) | instskip(NEXT) | instid1(VALU_DEP_2)
	v_mov_b64_e32 v[8:9], v[0:1]
	v_mov_b32_e32 v11, v10
.LBB0_215:                              ; =>This Inner Loop Header: Depth=1
	s_delay_alu instid0(VALU_DEP_1) | instskip(SKIP_1) | instid1(VALU_DEP_2)
	v_dual_mov_b32 v6, v8 :: v_dual_add_nc_u32 v11, -2, v11
	v_add_nc_u32_e32 v8, 0x200, v8
	v_lshl_add_u64 v[14:15], v[6:7], 2, s[6:7]
	v_dual_mov_b32 v6, v9 :: v_dual_add_nc_u32 v9, 0x200, v9
	s_delay_alu instid0(VALU_DEP_4) | instskip(NEXT) | instid1(VALU_DEP_2)
	v_cmp_eq_u32_e32 vcc_lo, 0, v11
	v_lshl_add_u64 v[16:17], v[6:7], 2, s[6:7]
	s_clause 0x1
	global_load_b32 v18, v[14:15], off
	global_load_b32 v19, v[16:17], off
	s_or_b32 s5, vcc_lo, s5
	s_wait_loadcnt 0x0
	v_pk_mul_f32 v[18:19], v[18:19], v[4:5]
	s_clause 0x1
	global_store_b32 v[14:15], v18, off
	global_store_b32 v[16:17], v19, off
	s_wait_xcnt 0x0
	s_and_not1_b32 exec_lo, exec_lo, s5
	s_cbranch_execnz .LBB0_215
; %bb.216:
	s_or_b32 exec_lo, exec_lo, s5
	v_cmp_ne_u32_e32 vcc_lo, v3, v10
	v_lshl_add_u32 v6, v10, 8, v0
	s_or_not1_b32 s5, vcc_lo, exec_lo
.LBB0_217:
	s_or_b32 exec_lo, exec_lo, s4
	s_delay_alu instid0(SALU_CYCLE_1)
	s_and_b32 exec_lo, exec_lo, s5
	s_cbranch_execz .LBB0_220
; %bb.218:
	v_mov_b32_e32 v7, 0
	s_mov_b32 s4, 0
	s_delay_alu instid0(VALU_DEP_1)
	v_lshl_add_u64 v[8:9], v[6:7], 2, s[6:7]
.LBB0_219:                              ; =>This Inner Loop Header: Depth=1
	global_load_b32 v1, v[8:9], off
	s_wait_loadcnt 0x0
	v_dual_mul_f32 v1, v1, v4 :: v_dual_add_nc_u32 v6, 0x100, v6
	s_delay_alu instid0(VALU_DEP_1) | instskip(SKIP_4) | instid1(SALU_CYCLE_1)
	v_cmp_le_i32_e32 vcc_lo, s63, v6
	global_store_b32 v[8:9], v1, off
	s_wait_xcnt 0x0
	v_add_nc_u64_e32 v[8:9], 0x400, v[8:9]
	s_or_b32 s4, vcc_lo, s4
	s_and_not1_b32 exec_lo, exec_lo, s4
	s_cbranch_execnz .LBB0_219
.LBB0_220:
	s_or_b32 exec_lo, exec_lo, s3
	s_wait_loadcnt 0x0
	s_wait_storecnt 0x0
	s_barrier_signal -1
	s_barrier_wait -1
	s_mov_b32 s4, exec_lo
	v_readlane_b32 s3, v34, 7
	s_and_b32 s3, s4, s3
	s_delay_alu instid0(SALU_CYCLE_1)
	s_mov_b32 exec_lo, s3
	s_cbranch_execz .LBB0_228
; %bb.221:
	v_dual_mov_b32 v7, 0 :: v_dual_mov_b32 v6, v0
	v_xad_u32 v1, v0, -1, s59
	s_mov_b32 s3, -1
	s_mov_b32 s5, exec_lo
	global_load_b32 v4, v7, s[8:9]
	s_wait_xcnt 0x0
	v_cmpx_lt_u32_e32 0xff, v1
	s_cbranch_execz .LBB0_225
; %bb.222:
	s_wait_loadcnt 0x0
	v_dual_lshrrev_b32 v1, 8, v1 :: v_dual_mov_b32 v5, v4
	s_mov_b32 s9, s2
	s_mov_b32 s8, 0
	s_delay_alu instid0(VALU_DEP_1) | instskip(SKIP_1) | instid1(VALU_DEP_2)
	v_add_nc_u32_e32 v3, 1, v1
	v_add_nc_u32_e32 v1, 0x100, v0
	v_and_b32_e32 v10, 0x1fffffe, v3
	s_delay_alu instid0(VALU_DEP_2) | instskip(NEXT) | instid1(VALU_DEP_2)
	v_mov_b64_e32 v[8:9], v[0:1]
	v_mov_b32_e32 v11, v10
.LBB0_223:                              ; =>This Inner Loop Header: Depth=1
	s_delay_alu instid0(VALU_DEP_1) | instskip(SKIP_1) | instid1(VALU_DEP_2)
	v_dual_mov_b32 v6, v8 :: v_dual_add_nc_u32 v11, -2, v11
	v_add_nc_u32_e32 v8, 0x200, v8
	v_lshlrev_b64_e32 v[14:15], 2, v[6:7]
	v_dual_mov_b32 v6, v9 :: v_dual_add_nc_u32 v9, 0x200, v9
	s_delay_alu instid0(VALU_DEP_1) | instskip(NEXT) | instid1(VALU_DEP_3)
	v_lshlrev_b64_e32 v[16:17], 2, v[6:7]
	v_add_nc_u64_e32 v[18:19], s[24:25], v[14:15]
	v_add_nc_u64_e32 v[14:15], s[92:93], v[14:15]
	s_delay_alu instid0(VALU_DEP_3)
	v_add_nc_u64_e32 v[20:21], s[24:25], v[16:17]
	v_add_nc_u64_e32 v[16:17], s[92:93], v[16:17]
	s_clause 0x1
	global_load_b32 v18, v[18:19], off
	global_load_b32 v19, v[20:21], off
	s_clause 0x1
	global_load_b32 v20, v[14:15], off
	global_load_b32 v21, v[16:17], off
	s_wait_loadcnt 0x2
	v_pk_mul_f32 v[18:19], v[18:19], v[4:5]
	s_delay_alu instid0(VALU_DEP_1) | instskip(NEXT) | instid1(VALU_DEP_2)
	v_div_scale_f32 v1, null, s9, s9, v19
	v_div_scale_f32 v6, null, s2, s2, v18
	v_div_scale_f32 v13, vcc_lo, v19, s9, v19
	s_delay_alu instid0(VALU_DEP_3) | instskip(NEXT) | instid1(VALU_DEP_2)
	v_rcp_f32_e32 v22, v1
	v_rcp_f32_e32 v23, v6
	v_div_scale_f32 v24, s3, v18, s2, v18
	s_delay_alu instid0(TRANS32_DEP_2) | instskip(NEXT) | instid1(TRANS32_DEP_1)
	v_fma_f32 v25, -v1, v22, 1.0
	v_fma_f32 v26, -v6, v23, 1.0
	s_delay_alu instid0(VALU_DEP_1) | instskip(NEXT) | instid1(VALU_DEP_1)
	v_dual_fmac_f32 v22, v25, v22 :: v_dual_fmac_f32 v23, v26, v23
	v_dual_mul_f32 v25, v13, v22 :: v_dual_mul_f32 v26, v24, v23
	s_delay_alu instid0(VALU_DEP_1) | instskip(NEXT) | instid1(VALU_DEP_1)
	v_dual_fma_f32 v27, -v1, v25, v13 :: v_dual_fma_f32 v28, -v6, v26, v24
	v_dual_fmac_f32 v25, v27, v22 :: v_dual_fmac_f32 v26, v28, v23
	s_delay_alu instid0(VALU_DEP_1) | instskip(NEXT) | instid1(VALU_DEP_1)
	v_dual_fma_f32 v1, -v1, v25, v13 :: v_dual_fma_f32 v6, -v6, v26, v24
	v_div_fmas_f32 v1, v1, v22, v25
	s_mov_b32 vcc_lo, s3
	s_delay_alu instid0(VALU_DEP_2) | instskip(SKIP_1) | instid1(VALU_DEP_3)
	v_div_fmas_f32 v6, v6, v23, v26
	v_cmp_eq_u32_e32 vcc_lo, 0, v11
	v_div_fixup_f32 v19, v1, s9, v19
	s_delay_alu instid0(VALU_DEP_3) | instskip(SKIP_2) | instid1(VALU_DEP_1)
	v_div_fixup_f32 v18, v6, s2, v18
	s_or_b32 s8, vcc_lo, s8
	s_wait_loadcnt 0x0
	v_pk_add_f32 v[18:19], v[20:21], v[18:19] neg_lo:[0,1] neg_hi:[0,1]
	s_clause 0x1
	global_store_b32 v[14:15], v18, off
	global_store_b32 v[16:17], v19, off
	s_wait_xcnt 0x0
	s_and_not1_b32 exec_lo, exec_lo, s8
	s_cbranch_execnz .LBB0_223
; %bb.224:
	s_or_b32 exec_lo, exec_lo, s8
	v_cmp_ne_u32_e32 vcc_lo, v3, v10
	v_lshl_add_u32 v6, v10, 8, v0
	s_or_not1_b32 s3, vcc_lo, exec_lo
.LBB0_225:
	s_or_b32 exec_lo, exec_lo, s5
	s_delay_alu instid0(SALU_CYCLE_1)
	s_and_b32 exec_lo, exec_lo, s3
	s_cbranch_execz .LBB0_228
; %bb.226:
	v_mov_b32_e32 v7, 0
	s_mov_b32 s3, 0
	s_delay_alu instid0(VALU_DEP_1) | instskip(NEXT) | instid1(VALU_DEP_1)
	v_lshlrev_b64_e32 v[10:11], 2, v[6:7]
	v_add_nc_u64_e32 v[8:9], s[92:93], v[10:11]
	v_add_nc_u64_e32 v[10:11], s[24:25], v[10:11]
.LBB0_227:                              ; =>This Inner Loop Header: Depth=1
	global_load_b32 v1, v[10:11], off
	global_load_b32 v3, v[8:9], off
	s_wait_xcnt 0x1
	v_add_nc_u64_e32 v[10:11], 0x400, v[10:11]
	s_wait_loadcnt 0x1
	v_dual_mul_f32 v1, v1, v4 :: v_dual_add_nc_u32 v6, 0x100, v6
	s_delay_alu instid0(VALU_DEP_1) | instskip(SKIP_1) | instid1(VALU_DEP_2)
	v_div_scale_f32 v5, null, s2, s2, v1
	v_div_scale_f32 v14, vcc_lo, v1, s2, v1
	v_rcp_f32_e32 v7, v5
	v_nop
	s_delay_alu instid0(TRANS32_DEP_1) | instskip(NEXT) | instid1(VALU_DEP_1)
	v_fma_f32 v13, -v5, v7, 1.0
	v_fmac_f32_e32 v7, v13, v7
	s_delay_alu instid0(VALU_DEP_1) | instskip(NEXT) | instid1(VALU_DEP_1)
	v_mul_f32_e32 v13, v14, v7
	v_fma_f32 v15, -v5, v13, v14
	s_delay_alu instid0(VALU_DEP_1) | instskip(NEXT) | instid1(VALU_DEP_1)
	v_fmac_f32_e32 v13, v15, v7
	v_fma_f32 v5, -v5, v13, v14
	s_delay_alu instid0(VALU_DEP_1) | instskip(SKIP_1) | instid1(VALU_DEP_2)
	v_div_fmas_f32 v5, v5, v7, v13
	v_cmp_le_i32_e32 vcc_lo, s59, v6
	v_div_fixup_f32 v1, v5, s2, v1
	s_or_b32 s3, vcc_lo, s3
	s_wait_loadcnt 0x0
	s_delay_alu instid0(VALU_DEP_1)
	v_sub_f32_e32 v1, v3, v1
	global_store_b32 v[8:9], v1, off
	s_wait_xcnt 0x0
	v_add_nc_u64_e32 v[8:9], 0x400, v[8:9]
	s_and_not1_b32 exec_lo, exec_lo, s3
	s_cbranch_execnz .LBB0_227
.LBB0_228:
	s_or_b32 exec_lo, exec_lo, s4
	s_wait_loadcnt 0x0
	s_wait_storecnt 0x0
	s_barrier_signal -1
	s_barrier_wait -1
	s_and_saveexec_b32 s2, s0
	s_cbranch_execz .LBB0_236
; %bb.229:
	v_mov_b32_e32 v4, v0
	s_mov_b32 s0, -1
	s_mov_b32 s3, exec_lo
	v_cmpx_lt_u32_e32 0xff, v12
	s_cbranch_execz .LBB0_233
; %bb.230:
	v_dual_lshrrev_b32 v1, 8, v12 :: v_dual_mov_b32 v5, 0
	s_mov_b32 s4, 0
	s_delay_alu instid0(VALU_DEP_1) | instskip(SKIP_1) | instid1(VALU_DEP_2)
	v_add_nc_u32_e32 v3, 1, v1
	v_add_nc_u32_e32 v1, 0x100, v0
	v_and_b32_e32 v8, 0x1fffffe, v3
	s_delay_alu instid0(VALU_DEP_2) | instskip(NEXT) | instid1(VALU_DEP_2)
	v_mov_b64_e32 v[6:7], v[0:1]
	v_mov_b32_e32 v9, v8
.LBB0_231:                              ; =>This Inner Loop Header: Depth=1
	s_delay_alu instid0(VALU_DEP_1) | instskip(SKIP_1) | instid1(VALU_DEP_2)
	v_dual_mov_b32 v4, v6 :: v_dual_add_nc_u32 v9, -2, v9
	v_add_nc_u32_e32 v6, 0x200, v6
	v_lshlrev_b64_e32 v[10:11], 2, v[4:5]
	v_dual_mov_b32 v4, v7 :: v_dual_add_nc_u32 v7, 0x200, v7
	s_delay_alu instid0(VALU_DEP_1) | instskip(NEXT) | instid1(VALU_DEP_3)
	v_lshlrev_b64_e32 v[12:13], 2, v[4:5]
	v_add_nc_u64_e32 v[14:15], s[6:7], v[10:11]
	v_add_nc_u64_e32 v[10:11], s[92:93], v[10:11]
	s_delay_alu instid0(VALU_DEP_3)
	v_add_nc_u64_e32 v[16:17], s[92:93], v[12:13]
	v_add_nc_u64_e32 v[12:13], s[6:7], v[12:13]
	global_load_b32 v1, v[14:15], off
	s_clause 0x1
	global_load_b32 v4, v[10:11], off
	global_load_b32 v10, v[16:17], off
	;; [unrolled: 1-line block ×3, first 2 shown]
	s_wait_loadcnt 0x2
	s_wait_xcnt 0x1
	v_div_scale_f32 v16, null, v1, v1, v4
	s_wait_loadcnt 0x0
	v_div_scale_f32 v18, null, v11, v11, v10
	v_div_scale_f32 v17, s0, v4, v1, v4
	s_delay_alu instid0(VALU_DEP_3) | instskip(NEXT) | instid1(VALU_DEP_2)
	v_rcp_f32_e32 v19, v16
	v_rcp_f32_e32 v20, v18
	v_div_scale_f32 v21, vcc_lo, v10, v11, v10
	s_delay_alu instid0(TRANS32_DEP_2) | instskip(NEXT) | instid1(TRANS32_DEP_1)
	v_fma_f32 v22, -v16, v19, 1.0
	v_fma_f32 v23, -v18, v20, 1.0
	s_delay_alu instid0(VALU_DEP_1) | instskip(NEXT) | instid1(VALU_DEP_1)
	v_dual_fmac_f32 v19, v22, v19 :: v_dual_fmac_f32 v20, v23, v20
	v_mul_f32_e32 v22, v17, v19
	s_delay_alu instid0(VALU_DEP_1) | instskip(NEXT) | instid1(VALU_DEP_1)
	v_dual_mul_f32 v23, v21, v20 :: v_dual_fma_f32 v24, -v16, v22, v17
	v_fma_f32 v25, -v18, v23, v21
	s_delay_alu instid0(VALU_DEP_1) | instskip(NEXT) | instid1(VALU_DEP_1)
	v_dual_fmac_f32 v22, v24, v19 :: v_dual_fmac_f32 v23, v25, v20
	v_fma_f32 v16, -v16, v22, v17
	s_delay_alu instid0(VALU_DEP_2) | instskip(NEXT) | instid1(VALU_DEP_1)
	v_fma_f32 v17, -v18, v23, v21
	v_div_fmas_f32 v17, v17, v20, v23
	s_mov_b32 vcc_lo, s0
	s_delay_alu instid0(VALU_DEP_3) | instskip(SKIP_1) | instid1(VALU_DEP_3)
	v_div_fmas_f32 v16, v16, v19, v22
	v_cmp_eq_u32_e32 vcc_lo, 0, v9
	v_div_fixup_f32 v10, v17, v11, v10
	s_delay_alu instid0(VALU_DEP_3)
	v_div_fixup_f32 v1, v16, v1, v4
	s_or_b32 s4, vcc_lo, s4
	s_clause 0x1
	global_store_b32 v[14:15], v1, off
	global_store_b32 v[12:13], v10, off
	s_wait_xcnt 0x0
	s_and_not1_b32 exec_lo, exec_lo, s4
	s_cbranch_execnz .LBB0_231
; %bb.232:
	s_or_b32 exec_lo, exec_lo, s4
	v_cmp_ne_u32_e32 vcc_lo, v3, v8
	v_lshl_add_u32 v4, v8, 8, v0
	s_or_not1_b32 s0, vcc_lo, exec_lo
.LBB0_233:
	s_or_b32 exec_lo, exec_lo, s3
	s_delay_alu instid0(SALU_CYCLE_1)
	s_and_b32 exec_lo, exec_lo, s0
	s_cbranch_execz .LBB0_236
; %bb.234:
	v_mov_b32_e32 v5, 0
	s_mov_b32 s0, 0
	s_delay_alu instid0(VALU_DEP_1) | instskip(NEXT) | instid1(VALU_DEP_1)
	v_lshlrev_b64_e32 v[8:9], 2, v[4:5]
	v_add_nc_u64_e32 v[6:7], s[92:93], v[8:9]
	v_add_nc_u64_e32 v[8:9], s[6:7], v[8:9]
.LBB0_235:                              ; =>This Inner Loop Header: Depth=1
	global_load_b32 v1, v[6:7], off
	global_load_b32 v3, v[8:9], off
	s_wait_xcnt 0x1
	v_add_nc_u64_e32 v[6:7], 0x400, v[6:7]
	v_add_nc_u32_e32 v4, 0x100, v4
	s_wait_loadcnt 0x0
	v_div_scale_f32 v5, null, v3, v3, v1
	v_div_scale_f32 v12, vcc_lo, v1, v3, v1
	s_delay_alu instid0(VALU_DEP_2) | instskip(SKIP_1) | instid1(TRANS32_DEP_1)
	v_rcp_f32_e32 v10, v5
	v_nop
	v_fma_f32 v11, -v5, v10, 1.0
	s_delay_alu instid0(VALU_DEP_1) | instskip(NEXT) | instid1(VALU_DEP_1)
	v_fmac_f32_e32 v10, v11, v10
	v_mul_f32_e32 v11, v12, v10
	s_delay_alu instid0(VALU_DEP_1) | instskip(NEXT) | instid1(VALU_DEP_1)
	v_fma_f32 v13, -v5, v11, v12
	v_fmac_f32_e32 v11, v13, v10
	s_delay_alu instid0(VALU_DEP_1) | instskip(NEXT) | instid1(VALU_DEP_1)
	v_fma_f32 v5, -v5, v11, v12
	v_div_fmas_f32 v5, v5, v10, v11
	v_cmp_le_i32_e32 vcc_lo, s63, v4
	s_delay_alu instid0(VALU_DEP_2)
	v_div_fixup_f32 v1, v5, v3, v1
	s_or_b32 s0, vcc_lo, s0
	global_store_b32 v[8:9], v1, off
	s_wait_xcnt 0x0
	v_add_nc_u64_e32 v[8:9], 0x400, v[8:9]
	s_and_not1_b32 exec_lo, exec_lo, s0
	s_cbranch_execnz .LBB0_235
.LBB0_236:
	s_or_b32 exec_lo, exec_lo, s2
	s_mul_i32 s16, s70, s98
	s_mul_i32 s0, s84, s61
	s_ashr_i32 s17, s16, 31
	s_add_co_i32 s4, s0, s33
	s_mov_b32 s0, exec_lo
	s_wait_storecnt 0x0
	s_barrier_signal -1
	s_barrier_wait -1
	v_cmpx_gt_i32_e64 s70, v0
	s_cbranch_execz .LBB0_243
; %bb.237:
	s_ashr_i32 s5, s4, 31
	v_readlane_b32 s10, v34, 4
	s_lshl_b64 s[2:3], s[4:5], 2
	v_readlane_b32 s11, v34, 5
	s_add_nc_u64 s[8:9], s[90:91], s[2:3]
	s_add_nc_u64 s[2:3], s[88:89], s[2:3]
	s_add_nc_u64 s[8:9], s[8:9], -4
	s_add_nc_u64 s[2:3], s[2:3], -4
	s_load_b32 s5, s[10:11], 0x0
	v_readlane_b32 s18, v34, 0
	s_load_b32 s8, s[8:9], 0x0
	v_readlane_b32 s19, v34, 1
	s_wait_xcnt 0x0
	s_load_b32 s10, s[2:3], 0x0
	s_wait_xcnt 0x0
	v_readlane_b32 s2, v34, 2
	v_readlane_b32 s3, v34, 3
	v_dual_mov_b32 v3, 0 :: v_dual_mov_b32 v1, 1.0
	s_add_co_i32 s18, s18, s19
	s_mov_b32 s9, 0
	s_load_b32 s11, s[2:3], 0x0
	s_add_co_i32 s19, s18, 1
	s_wait_xcnt 0x0
	s_lshl_b64 s[2:3], s[16:17], 2
	s_delay_alu instid0(SALU_CYCLE_1) | instskip(NEXT) | instid1(SALU_CYCLE_1)
	s_add_nc_u64 s[2:3], s[36:37], s[2:3]
	v_add_nc_u64_e32 v[4:5], s[2:3], v[2:3]
	s_wait_kmcnt 0x0
	s_not_b32 s5, s5
	s_add_co_i32 s8, s8, s19
	s_delay_alu instid0(SALU_CYCLE_1) | instskip(SKIP_4) | instid1(SALU_CYCLE_1)
	s_add_co_i32 s5, s8, s5
	s_add_co_i32 s8, s18, s10
	s_mul_i32 s5, s5, s68
	s_add_co_i32 s10, s10, s19
	s_add_co_i32 s8, s8, s5
	v_sub_nc_u32_e32 v6, s8, v0
	s_not_b32 s18, s11
	s_delay_alu instid0(SALU_CYCLE_1) | instskip(NEXT) | instid1(SALU_CYCLE_1)
	s_add_co_i32 s8, s10, s18
	s_add_co_i32 s8, s8, s5
	s_delay_alu instid0(VALU_DEP_1) | instskip(SKIP_2) | instid1(SALU_CYCLE_1)
	v_subrev_nc_u32_e32 v2, s11, v6
	v_mov_b32_e32 v6, v0
	s_lshl_b64 s[10:11], s[8:9], 2
	s_add_nc_u64 s[10:11], s[2:3], s[10:11]
	s_branch .LBB0_239
.LBB0_238:                              ;   in Loop: Header=BB0_239 Depth=1
	s_wait_xcnt 0x0
	s_or_b32 exec_lo, exec_lo, s2
	v_add_nc_u32_e32 v6, 0x100, v6
	v_add_nc_u64_e32 v[4:5], 0x400, v[4:5]
	v_add_nc_u32_e32 v2, 0xffffff00, v2
	s_delay_alu instid0(VALU_DEP_3) | instskip(SKIP_1) | instid1(SALU_CYCLE_1)
	v_cmp_le_i32_e32 vcc_lo, s70, v6
	s_or_b32 s9, vcc_lo, s9
	s_and_not1_b32 exec_lo, exec_lo, s9
	s_cbranch_execz .LBB0_243
.LBB0_239:                              ; =>This Inner Loop Header: Depth=1
	s_mov_b32 s2, exec_lo
	v_cmpx_ne_u32_e32 0, v2
	s_xor_b32 s2, exec_lo, s2
	s_cbranch_execz .LBB0_241
; %bb.240:                              ;   in Loop: Header=BB0_239 Depth=1
	global_store_b32 v[4:5], v3, off
.LBB0_241:                              ;   in Loop: Header=BB0_239 Depth=1
	s_wait_xcnt 0x0
	s_and_not1_saveexec_b32 s2, s2
	s_cbranch_execz .LBB0_238
; %bb.242:                              ;   in Loop: Header=BB0_239 Depth=1
	global_store_b32 v3, v1, s[10:11]
	s_branch .LBB0_238
.LBB0_243:
	s_or_b32 exec_lo, exec_lo, s0
	s_mul_i32 s8, s66, s98
	s_mov_b32 s2, exec_lo
	s_ashr_i32 s9, s8, 31
	s_wait_storecnt 0x0
	s_barrier_signal -1
	s_barrier_wait -1
	v_cmpx_gt_i32_e64 s66, v0
	s_cbranch_execz .LBB0_254
; %bb.244:
	s_abs_i32 s3, s64
	s_lshl_b64 s[18:19], s[8:9], 2
	s_cvt_f32_u32 s0, s3
	s_sub_co_i32 s10, 0, s3
	s_lshl_b64 s[28:29], s[16:17], 2
	v_mov_b32_e32 v3, 0
	v_rcp_iflag_f32_e32 v1, s0
	s_mov_b32 s11, 0
	s_add_nc_u64 s[16:17], s[38:39], s[18:19]
	s_add_nc_u64 s[18:19], s[36:37], s[28:29]
	s_ashr_i32 s5, s64, 31
	s_sub_co_i32 s24, 0, s100
	s_sub_co_i32 s25, 1, s100
	v_nop
	v_readfirstlane_b32 s0, v1
	v_mov_b32_e32 v1, v0
	s_sub_co_i32 s26, 0, s101
	s_add_nc_u64 s[18:19], s[18:19], -4
	s_mov_b32 s27, s11
	s_mul_f32 s0, s0, 0x4f7ffffe
	s_delay_alu instid0(SALU_CYCLE_3) | instskip(NEXT) | instid1(SALU_CYCLE_3)
	s_cvt_u32_f32 s0, s0
	s_mul_i32 s10, s10, s0
	s_delay_alu instid0(SALU_CYCLE_1) | instskip(NEXT) | instid1(SALU_CYCLE_1)
	s_mul_hi_u32 s10, s0, s10
	s_add_co_i32 s10, s0, s10
	s_branch .LBB0_247
.LBB0_245:                              ;   in Loop: Header=BB0_247 Depth=1
	s_or_b32 exec_lo, exec_lo, s29
.LBB0_246:                              ;   in Loop: Header=BB0_247 Depth=1
	s_delay_alu instid0(SALU_CYCLE_1)
	s_or_b32 exec_lo, exec_lo, s28
	global_load_b32 v2, v1, s[6:7] scale_offset
	s_wait_loadcnt 0x0
	v_mul_f32_e32 v2, v9, v2
	global_store_b32 v1, v2, s[16:17] scale_offset
	s_wait_xcnt 0x0
	v_add_nc_u32_e32 v1, 0x100, v1
	s_delay_alu instid0(VALU_DEP_1) | instskip(SKIP_1) | instid1(SALU_CYCLE_1)
	v_cmp_le_i32_e32 vcc_lo, s66, v1
	s_or_b32 s27, vcc_lo, s27
	s_and_not1_b32 exec_lo, exec_lo, s27
	s_cbranch_execz .LBB0_254
.LBB0_247:                              ; =>This Loop Header: Depth=1
                                        ;     Child Loop BB0_250 Depth 2
                                        ;       Child Loop BB0_252 Depth 3
	v_add_nc_u32_e32 v6, 1, v1
	v_not_b32_e32 v2, v1
	s_mov_b32 s28, exec_lo
	s_delay_alu instid0(VALU_DEP_1) | instskip(NEXT) | instid1(VALU_DEP_1)
	v_dual_mov_b32 v9, 0 :: v_dual_max_i32 v2, v6, v2
	v_mul_u64_e32 v[4:5], s[10:11], v[2:3]
	s_delay_alu instid0(VALU_DEP_1) | instskip(NEXT) | instid1(VALU_DEP_1)
	v_mul_lo_u32 v4, v5, s3
	v_dual_sub_nc_u32 v2, v2, v4 :: v_dual_add_nc_u32 v4, 1, v5
	s_delay_alu instid0(VALU_DEP_1) | instskip(SKIP_1) | instid1(VALU_DEP_3)
	v_subrev_nc_u32_e32 v7, s3, v2
	v_cmp_le_u32_e32 vcc_lo, s3, v2
	v_dual_cndmask_b32 v4, v5, v4 :: v_dual_ashrrev_i32 v5, 31, v6
	s_delay_alu instid0(VALU_DEP_1) | instskip(NEXT) | instid1(VALU_DEP_1)
	v_dual_cndmask_b32 v2, v2, v7 :: v_dual_add_nc_u32 v7, 1, v4
	v_cmp_le_u32_e32 vcc_lo, s3, v2
	s_delay_alu instid0(VALU_DEP_2) | instskip(NEXT) | instid1(VALU_DEP_1)
	v_dual_cndmask_b32 v2, v4, v7, vcc_lo :: v_dual_bitop2_b32 v5, s5, v5 bitop3:0x14
	v_xor_b32_e32 v2, v2, v5
	s_delay_alu instid0(VALU_DEP_1) | instskip(NEXT) | instid1(VALU_DEP_1)
	v_sub_nc_u32_e32 v2, v2, v5
	v_mul_lo_u32 v4, v2, s64
	s_delay_alu instid0(VALU_DEP_1) | instskip(NEXT) | instid1(VALU_DEP_1)
	v_sub_nc_u32_e32 v5, v6, v4
	v_cmp_ne_u32_e32 vcc_lo, 0, v5
	v_add_co_ci_u32_e64 v4, null, s103, v2, vcc_lo
	s_delay_alu instid0(VALU_DEP_1) | instskip(SKIP_1) | instid1(VALU_DEP_2)
	v_subrev_nc_u32_e32 v2, s101, v4
	v_cmp_le_i32_e64 s0, s101, v4
	v_dual_add_nc_u32 v6, 1, v2 :: v_dual_min_i32 v2, s69, v4
	s_delay_alu instid0(VALU_DEP_1) | instskip(NEXT) | instid1(VALU_DEP_1)
	v_cndmask_b32_e64 v8, 1, v6, s0
	v_cmpx_le_i32_e64 v8, v2
	s_cbranch_execz .LBB0_246
; %bb.248:                              ;   in Loop: Header=BB0_247 Depth=1
	v_cndmask_b32_e32 v5, s64, v5, vcc_lo
	s_mov_b32 s29, 0
	s_delay_alu instid0(VALU_DEP_1) | instskip(NEXT) | instid1(VALU_DEP_1)
	v_dual_add_nc_u32 v5, s102, v5 :: v_dual_max_i32 v4, s101, v4
	v_dual_add_nc_u32 v4, s26, v4 :: v_dual_max_i32 v7, s100, v5
	v_subrev_nc_u32_e32 v6, s100, v5
	v_cmp_le_i32_e32 vcc_lo, s100, v5
	s_delay_alu instid0(VALU_DEP_3) | instskip(NEXT) | instid1(VALU_DEP_3)
	v_dual_add_nc_u32 v9, s25, v7 :: v_dual_min_i32 v10, s68, v5
	v_dual_add_nc_u32 v6, 1, v6 :: v_dual_add_nc_u32 v11, s24, v7
	s_delay_alu instid0(VALU_DEP_2) | instskip(NEXT) | instid1(VALU_DEP_2)
	v_mad_u32 v4, s68, v4, v9
	v_dual_cndmask_b32 v5, 1, v6, vcc_lo :: v_dual_mov_b32 v9, 0
	s_delay_alu instid0(VALU_DEP_1)
	v_cmp_le_i32_e32 vcc_lo, v5, v10
	s_branch .LBB0_250
.LBB0_249:                              ;   in Loop: Header=BB0_250 Depth=2
	s_or_b32 exec_lo, exec_lo, s30
	v_add_nc_u32_e32 v5, 1, v8
	v_cmp_ge_i32_e64 s0, v8, v2
	s_delay_alu instid0(VALU_DEP_2) | instskip(SKIP_1) | instid1(SALU_CYCLE_1)
	v_dual_add_nc_u32 v4, s68, v4 :: v_dual_mov_b32 v8, v5
	s_or_b32 s29, s0, s29
	s_and_not1_b32 exec_lo, exec_lo, s29
	s_cbranch_execz .LBB0_245
.LBB0_250:                              ;   Parent Loop BB0_247 Depth=1
                                        ; =>  This Loop Header: Depth=2
                                        ;       Child Loop BB0_252 Depth 3
	s_and_saveexec_b32 s30, vcc_lo
	s_cbranch_execz .LBB0_249
; %bb.251:                              ;   in Loop: Header=BB0_250 Depth=2
	s_delay_alu instid0(VALU_DEP_1) | instskip(SKIP_1) | instid1(VALU_DEP_1)
	v_ashrrev_i32_e32 v5, 31, v4
	s_mov_b32 s31, 0
	v_lshl_add_u64 v[6:7], v[4:5], 2, s[18:19]
	v_mov_b32_e32 v5, v11
.LBB0_252:                              ;   Parent Loop BB0_247 Depth=1
                                        ;     Parent Loop BB0_250 Depth=2
                                        ; =>    This Inner Loop Header: Depth=3
	global_load_b32 v12, v[6:7], off
	v_add_nc_u32_e32 v5, 1, v5
	s_wait_xcnt 0x0
	v_add_nc_u64_e32 v[6:7], 4, v[6:7]
	s_wait_loadcnt 0x0
	v_add_f32_e32 v9, v9, v12
	v_cmp_ge_i32_e64 s0, v5, v10
	s_or_b32 s31, s0, s31
	s_delay_alu instid0(SALU_CYCLE_1)
	s_and_not1_b32 exec_lo, exec_lo, s31
	s_cbranch_execnz .LBB0_252
; %bb.253:                              ;   in Loop: Header=BB0_250 Depth=2
	s_or_b32 exec_lo, exec_lo, s31
	s_branch .LBB0_249
.LBB0_254:
	s_or_b32 exec_lo, exec_lo, s2
	s_mul_i32 s2, s64, s98
	s_mov_b32 s0, exec_lo
	s_ashr_i32 s3, s2, 31
	s_wait_storecnt 0x0
	s_lshl_b64 s[2:3], s[2:3], 2
	s_barrier_signal -1
	s_add_nc_u64 s[6:7], s[20:21], s[2:3]
	s_add_nc_u64 s[10:11], s[22:23], s[2:3]
	s_barrier_wait -1
	v_cmpx_gt_i32_e64 s64, v0
	s_cbranch_execz .LBB0_260
; %bb.255:
	v_mul_lo_u32 v2, v0, s64
	s_cmp_gt_i32 s65, 0
	v_dual_mov_b32 v1, 0 :: v_dual_mov_b32 v6, 0
	v_mov_b32_e32 v7, v0
	s_cselect_b32 s3, -1, 0
	s_lshl_b64 s[8:9], s[8:9], 2
	s_mov_b32 s2, 0
	s_lshl_b32 s5, s64, 8
	s_add_nc_u64 s[8:9], s[38:39], s[8:9]
	s_branch .LBB0_257
.LBB0_256:                              ;   in Loop: Header=BB0_257 Depth=1
	s_delay_alu instid0(VALU_DEP_2)
	v_cvt_f32_i32_e32 v3, v6
	v_add_nc_u32_e32 v2, s5, v2
	s_clause 0x1
	global_store_b32 v7, v3, s[10:11] scale_offset
	global_store_b32 v7, v1, s[6:7] scale_offset
	s_wait_xcnt 0x0
	v_add_nc_u32_e32 v7, 0x100, v7
	s_delay_alu instid0(VALU_DEP_1) | instskip(SKIP_1) | instid1(SALU_CYCLE_1)
	v_cmp_le_i32_e32 vcc_lo, s64, v7
	s_or_b32 s2, vcc_lo, s2
	s_and_not1_b32 exec_lo, exec_lo, s2
	s_cbranch_execz .LBB0_260
.LBB0_257:                              ; =>This Loop Header: Depth=1
                                        ;     Child Loop BB0_259 Depth 2
	s_and_not1_b32 vcc_lo, exec_lo, s3
	s_cbranch_vccnz .LBB0_256
; %bb.258:                              ;   in Loop: Header=BB0_257 Depth=1
	v_ashrrev_i32_e32 v3, 31, v2
	s_mov_b32 s16, s65
	s_delay_alu instid0(VALU_DEP_1)
	v_lshl_add_u64 v[4:5], v[2:3], 2, s[8:9]
	v_mov_b32_e32 v3, v2
.LBB0_259:                              ;   Parent Loop BB0_257 Depth=1
                                        ; =>  This Inner Loop Header: Depth=2
	global_load_b32 v8, v[4:5], off
	s_wait_xcnt 0x0
	v_add_nc_u64_e32 v[4:5], 4, v[4:5]
	s_add_co_i32 s16, s16, -1
	s_delay_alu instid0(SALU_CYCLE_1) | instskip(SKIP_3) | instid1(VALU_DEP_2)
	s_cmp_lg_u32 s16, 0
	s_wait_loadcnt 0x0
	v_cmp_gt_f32_e64 vcc_lo, |v8|, v1
	v_dual_cndmask_b32 v6, v6, v3 :: v_dual_add_nc_u32 v3, 1, v3
	v_cndmask_b32_e64 v1, v1, |v8|, vcc_lo
	s_cbranch_scc1 .LBB0_259
	s_branch .LBB0_256
.LBB0_260:
	s_or_b32 exec_lo, exec_lo, s0
	s_wait_storecnt 0x0
	s_barrier_signal -1
	s_barrier_wait -1
	s_and_saveexec_b32 s0, s1
	s_cbranch_execz .LBB0_269
; %bb.261:
	s_cmp_lt_i32 s64, 1
	s_mov_b32 s1, 1
	s_cbranch_scc1 .LBB0_268
; %bb.262:
	v_dual_mov_b32 v1, 0 :: v_dual_mov_b32 v2, 0
	s_mov_b32 s2, 0
	s_mov_b32 s1, s64
	s_branch .LBB0_264
.LBB0_263:                              ;   in Loop: Header=BB0_264 Depth=1
	s_add_co_i32 s1, s1, -1
	s_add_nc_u64 s[6:7], s[6:7], 4
	s_cmp_lg_u32 s1, 0
	s_add_nc_u64 s[10:11], s[10:11], 4
	s_cbranch_scc0 .LBB0_267
.LBB0_264:                              ; =>This Inner Loop Header: Depth=1
	global_load_b32 v3, v1, s[6:7]
	s_wait_loadcnt 0x0
	v_cmp_ngt_f32_e32 vcc_lo, v3, v2
	s_cbranch_vccnz .LBB0_263
; %bb.265:                              ;   in Loop: Header=BB0_264 Depth=1
	global_load_b32 v2, v1, s[10:11]
	s_wait_loadcnt 0x0
	v_readfirstlane_b32 s2, v2
	v_mov_b32_e32 v2, v3
	s_cvt_i32_f32 s2, s2
	s_branch .LBB0_263
.LBB0_266:
	s_cbranch_execz .LBB0_271
	s_branch .LBB0_284
.LBB0_267:
	s_add_co_i32 s1, s2, 1
.LBB0_268:
	s_abs_i32 s2, s64
	s_abs_i32 s6, s1
	s_cvt_f32_u32 s3, s2
	s_sub_co_i32 s5, 0, s2
	s_delay_alu instid0(SALU_CYCLE_2) | instskip(SKIP_1) | instid1(TRANS32_DEP_1)
	v_rcp_iflag_f32_e32 v1, s3
	v_nop
	v_readfirstlane_b32 s3, v1
	s_mul_f32 s3, s3, 0x4f7ffffe
	s_delay_alu instid0(SALU_CYCLE_3) | instskip(NEXT) | instid1(SALU_CYCLE_3)
	s_cvt_u32_f32 s3, s3
	s_mul_i32 s5, s5, s3
	s_delay_alu instid0(SALU_CYCLE_1) | instskip(NEXT) | instid1(SALU_CYCLE_1)
	s_mul_hi_u32 s5, s3, s5
	s_add_co_i32 s3, s3, s5
	s_xor_b32 s5, s1, s64
	s_mul_hi_u32 s3, s6, s3
	s_ashr_i32 s5, s5, 31
	s_mul_i32 s7, s3, s2
	s_delay_alu instid0(SALU_CYCLE_1)
	s_sub_co_i32 s6, s6, s7
	s_add_co_i32 s7, s3, 1
	s_sub_co_i32 s8, s6, s2
	s_cmp_ge_u32 s6, s2
	s_cselect_b32 s3, s7, s3
	s_cselect_b32 s6, s8, s6
	s_add_co_i32 s7, s3, 1
	s_cmp_ge_u32 s6, s2
	v_readlane_b32 s8, v34, 0
	s_cselect_b32 s2, s7, s3
	v_readlane_b32 s6, v34, 2
	v_readlane_b32 s7, v34, 3
	s_xor_b32 s2, s2, s5
	v_readlane_b32 s9, v34, 1
	s_sub_co_i32 s2, s2, s5
	s_load_b32 s3, s[6:7], 0x0
	s_wait_xcnt 0x0
	v_readlane_b32 s6, v34, 4
	v_readlane_b32 s7, v34, 5
	s_mul_i32 s5, s2, s64
	s_delay_alu instid0(SALU_CYCLE_1)
	s_sub_co_i32 s1, s1, s5
	s_load_b32 s6, s[6:7], 0x0
	s_cmp_eq_u32 s1, 0
	s_cselect_b32 s5, -1, 0
	s_wait_xcnt 0x0
	s_and_b32 s7, s5, exec_lo
	s_cselect_b32 s1, s64, s1
	s_sub_co_i32 s7, s9, s8
	s_delay_alu instid0(SALU_CYCLE_1)
	s_sub_co_i32 s8, s7, s56
	s_sub_co_i32 s7, s7, s57
	s_add_co_i32 s1, s8, s1
	s_add_co_i32 s2, s7, s2
	s_wait_kmcnt 0x0
	s_add_co_i32 s1, s1, s3
	s_add_co_i32 s2, s2, 1
	s_cmp_lg_u32 s5, 0
	v_dual_mov_b32 v1, s4 :: v_dual_mov_b32 v2, s1
	s_sub_co_ci_u32 s2, s2, 0
	s_delay_alu instid0(SALU_CYCLE_1) | instskip(NEXT) | instid1(SALU_CYCLE_1)
	s_add_co_i32 s2, s2, s6
	v_mov_b32_e32 v3, s2
	s_clause 0x1
	global_store_b32 v1, v2, s[88:89] scale_offset
	global_store_b32 v1, v3, s[90:91] scale_offset
.LBB0_269:
	s_wait_xcnt 0x0
	s_or_b32 exec_lo, exec_lo, s0
	s_mul_i32 s0, s33, 0xcccccccd
	s_mov_b32 s5, 0
	s_add_co_i32 s0, s0, 0x19999998
	s_mov_b32 s2, 0
	v_alignbit_b32 v1, s0, s0, 1
	s_wait_storecnt 0x0
	s_barrier_signal -1
	s_barrier_wait -1
	s_delay_alu instid0(VALU_DEP_1)
	v_cmp_lt_u32_e32 vcc_lo, 0x19999998, v1
	s_cbranch_vccz .LBB0_273
; %bb.270:
	s_and_b32 vcc_lo, exec_lo, s5
	s_cbranch_vccnz .LBB0_284
.LBB0_271:
	s_and_b32 vcc_lo, exec_lo, s2
	s_cbranch_vccnz .LBB0_295
.LBB0_272:
	s_endpgm
.LBB0_273:
	v_mov_b32_e32 v1, s4
	v_readlane_b32 s0, v34, 2
	v_readlane_b32 s1, v34, 3
	s_clause 0x1
	global_load_b32 v2, v1, s[88:89] scale_offset
	global_load_b32 v3, v1, s[90:91] scale_offset
	s_wait_xcnt 0x0
	v_mov_b32_e32 v1, 0
	s_wait_loadcnt 0x1
	global_store_b32 v1, v2, s[0:1]
	s_wait_xcnt 0x0
	v_readlane_b32 s0, v34, 4
	v_readlane_b32 s1, v34, 5
	s_wait_loadcnt 0x0
	global_store_b32 v1, v3, s[0:1]
	s_wait_xcnt 0x0
	s_mov_b32 s4, exec_lo
	v_readlane_b32 s0, v34, 6
	s_and_b32 s0, s4, s0
	s_delay_alu instid0(SALU_CYCLE_1)
	s_mov_b32 exec_lo, s0
	s_cbranch_execz .LBB0_283
; %bb.274:
	v_subrev_nc_u32_e32 v10, 26, v3
	v_subrev_nc_u32_e32 v11, 27, v2
	v_mov_b64_e32 v[2:3], s[60:61]
	v_xad_u32 v1, v0, -1, s58
	s_sub_f32 s0, 1.0, s60
	s_mov_b32 s1, 0
                                        ; implicit-def: $vgpr4
	s_mov_b32 s2, exec_lo
	s_delay_alu instid0(VALU_DEP_1)
	v_cmpx_lt_u32_e32 0xff, v1
	s_xor_b32 s6, exec_lo, s2
	s_cbranch_execnz .LBB0_277
; %bb.275:
	s_and_not1_saveexec_b32 s2, s6
	s_cbranch_execnz .LBB0_280
.LBB0_276:
	s_or_b32 exec_lo, exec_lo, s2
	s_delay_alu instid0(SALU_CYCLE_1)
	s_and_b32 exec_lo, exec_lo, s1
	s_cbranch_execnz .LBB0_281
	s_branch .LBB0_283
.LBB0_277:
	s_abs_i32 s7, s56
	v_lshrrev_b32_e32 v3, 8, v1
	s_cvt_f32_u32 s1, s7
	v_add_nc_u32_e32 v1, 0x100, v0
	s_mov_b32 s2, s60
	s_mov_b32 s3, s60
	v_rcp_iflag_f32_e32 v2, s1
	v_dual_mov_b32 v3, 0 :: v_dual_add_nc_u32 v12, 1, v3
	s_mov_b32 s1, s0
	s_sub_co_i32 s17, 0, s7
	v_mov_b64_e32 v[4:5], s[0:1]
	s_delay_alu instid0(VALU_DEP_2) | instskip(NEXT) | instid1(TRANS32_DEP_1)
	v_and_b32_e32 v13, 0x1fffffe, v12
	v_readfirstlane_b32 s16, v2
	v_mov_b64_e32 v[6:7], s[2:3]
	v_mov_b64_e32 v[8:9], v[0:1]
	s_mov_b32 s3, 0
	v_mov_b32_e32 v1, v13
	s_mul_f32 s16, s16, 0x4f7ffffe
	s_mov_b32 s8, s56
	s_mov_b32 s9, s62
	;; [unrolled: 1-line block ×3, first 2 shown]
	s_cvt_u32_f32 s16, s16
	s_ashr_i32 s11, s56, 31
	s_delay_alu instid0(SALU_CYCLE_2) | instskip(NEXT) | instid1(SALU_CYCLE_1)
	s_mul_i32 s17, s17, s16
	s_mul_hi_u32 s1, s16, s17
	s_delay_alu instid0(SALU_CYCLE_1)
	s_add_co_i32 s2, s16, s1
	s_mov_b32 s1, s3
.LBB0_278:                              ; =>This Inner Loop Header: Depth=1
	v_dual_add_nc_u32 v16, 1, v8 :: v_dual_add_nc_u32 v17, 1, v9
	v_not_b32_e32 v2, v8
	s_delay_alu instid0(VALU_DEP_2) | instskip(NEXT) | instid1(VALU_DEP_2)
	v_dual_add_nc_u32 v1, -2, v1 :: v_dual_ashrrev_i32 v18, 31, v16
	v_dual_ashrrev_i32 v19, 31, v17 :: v_dual_max_i32 v2, v16, v2
	s_delay_alu instid0(VALU_DEP_2) | instskip(NEXT) | instid1(VALU_DEP_2)
	v_xor_b32_e32 v18, s11, v18
	v_mul_u64_e32 v[14:15], s[2:3], v[2:3]
	v_not_b32_e32 v14, v9
	s_delay_alu instid0(VALU_DEP_2) | instskip(SKIP_1) | instid1(VALU_DEP_2)
	v_mul_lo_u32 v20, v15, s7
	v_xor_b32_e32 v19, s11, v19
	v_dual_add_nc_u32 v21, 1, v15 :: v_dual_sub_nc_u32 v20, v2, v20
	s_delay_alu instid0(VALU_DEP_4) | instskip(NEXT) | instid1(VALU_DEP_2)
	v_max_i32_e32 v2, v17, v14
	v_cmp_le_u32_e32 vcc_lo, s7, v20
	v_subrev_nc_u32_e32 v22, s7, v20
	s_delay_alu instid0(VALU_DEP_4) | instskip(NEXT) | instid1(VALU_DEP_4)
	v_cndmask_b32_e32 v21, v15, v21, vcc_lo
	v_mul_u64_e32 v[14:15], s[2:3], v[2:3]
	s_delay_alu instid0(VALU_DEP_2) | instskip(NEXT) | instid1(VALU_DEP_1)
	v_dual_cndmask_b32 v14, v20, v22, vcc_lo :: v_dual_add_nc_u32 v20, 1, v21
	v_cmp_le_u32_e32 vcc_lo, s7, v14
	s_delay_alu instid0(VALU_DEP_2) | instskip(NEXT) | instid1(VALU_DEP_1)
	v_dual_cndmask_b32 v14, v21, v20 :: v_dual_add_nc_u32 v21, 1, v15
	v_xor_b32_e32 v14, v14, v18
	v_mul_lo_u32 v20, v15, s7
	s_delay_alu instid0(VALU_DEP_2) | instskip(NEXT) | instid1(VALU_DEP_1)
	v_sub_nc_u32_e32 v14, v14, v18
	v_mul_lo_u32 v18, v14, s56
	s_delay_alu instid0(VALU_DEP_1) | instskip(SKIP_1) | instid1(VALU_DEP_2)
	v_dual_sub_nc_u32 v2, v2, v20 :: v_dual_sub_nc_u32 v16, v16, v18
	v_add_nc_u32_e32 v14, v10, v14
	v_subrev_nc_u32_e32 v18, s7, v2
	s_delay_alu instid0(VALU_DEP_3) | instskip(SKIP_1) | instid1(VALU_DEP_4)
	v_cmp_eq_u32_e32 vcc_lo, 0, v16
	v_cndmask_b32_e64 v16, v16, s56, vcc_lo
	v_subrev_co_ci_u32_e64 v14, null, 0, v14, vcc_lo
	v_cmp_le_u32_e32 vcc_lo, s7, v2
	s_delay_alu instid0(VALU_DEP_3) | instskip(SKIP_1) | instid1(VALU_DEP_2)
	v_dual_add_nc_u32 v16, v11, v16 :: v_dual_cndmask_b32 v2, v2, v18, vcc_lo
	v_cndmask_b32_e32 v15, v15, v21, vcc_lo
	v_mad_u32 v22, v14, s9, v16
	s_delay_alu instid0(VALU_DEP_3) | instskip(NEXT) | instid1(VALU_DEP_3)
	v_cmp_le_u32_e32 vcc_lo, s7, v2
	v_add_nc_u32_e32 v18, 1, v15
	s_delay_alu instid0(VALU_DEP_1) | instskip(NEXT) | instid1(VALU_DEP_1)
	v_cndmask_b32_e32 v2, v15, v18, vcc_lo
	v_xor_b32_e32 v2, v2, v19
	s_delay_alu instid0(VALU_DEP_1) | instskip(NEXT) | instid1(VALU_DEP_1)
	v_sub_nc_u32_e32 v2, v2, v19
	v_mul_lo_u32 v15, v2, s8
	s_delay_alu instid0(VALU_DEP_1) | instskip(NEXT) | instid1(VALU_DEP_1)
	v_dual_add_nc_u32 v2, v10, v2 :: v_dual_sub_nc_u32 v14, v17, v15
	v_cmp_eq_u32_e32 vcc_lo, 0, v14
	v_cndmask_b32_e64 v14, v14, s8, vcc_lo
	s_delay_alu instid0(VALU_DEP_3) | instskip(SKIP_1) | instid1(VALU_DEP_3)
	v_subrev_co_ci_u32_e64 v2, null, 0, v2, vcc_lo
	v_cmp_eq_u32_e32 vcc_lo, 0, v1
	v_add_nc_u32_e32 v14, v11, v14
	s_or_b32 s1, vcc_lo, s1
	s_delay_alu instid0(VALU_DEP_1) | instskip(SKIP_2) | instid1(VALU_DEP_2)
	v_mad_u32 v23, v2, s10, v14
	v_mov_b32_e32 v2, v8
	v_add_nc_u32_e32 v8, 0x200, v8
	v_lshl_add_u64 v[14:15], v[2:3], 2, s[14:15]
	v_dual_mov_b32 v2, v9 :: v_dual_add_nc_u32 v9, 0x200, v9
	s_delay_alu instid0(VALU_DEP_1)
	v_lshl_add_u64 v[16:17], v[2:3], 2, s[14:15]
	s_clause 0x1
	global_load_b32 v18, v22, s[12:13] scale_offset
	global_load_b32 v19, v23, s[12:13] scale_offset
	s_clause 0x1
	global_load_b32 v20, v[14:15], off
	global_load_b32 v21, v[16:17], off
	s_wait_loadcnt 0x2
	v_pk_mul_f32 v[18:19], v[4:5], v[18:19]
	s_wait_loadcnt 0x0
	s_delay_alu instid0(VALU_DEP_1)
	v_pk_fma_f32 v[18:19], v[6:7], v[20:21], v[18:19]
	s_clause 0x1
	global_store_b32 v[14:15], v18, off
	global_store_b32 v[16:17], v19, off
	s_wait_xcnt 0x0
	s_and_not1_b32 exec_lo, exec_lo, s1
	s_cbranch_execnz .LBB0_278
; %bb.279:
	s_or_b32 exec_lo, exec_lo, s1
	v_cmp_ne_u32_e32 vcc_lo, v12, v13
	v_mov_b64_e32 v[2:3], s[60:61]
	v_lshl_add_u32 v4, v13, 8, v0
	s_and_b32 s1, vcc_lo, exec_lo
	s_and_not1_saveexec_b32 s2, s6
	s_cbranch_execz .LBB0_276
.LBB0_280:
	v_mov_b32_e32 v4, v0
	s_or_b32 s1, s1, exec_lo
	s_or_b32 exec_lo, exec_lo, s2
	s_delay_alu instid0(SALU_CYCLE_1)
	s_and_b32 exec_lo, exec_lo, s1
	s_cbranch_execz .LBB0_283
.LBB0_281:
	s_abs_i32 s2, s56
	v_dual_mov_b32 v7, 0 :: v_dual_mov_b32 v3, s0
	s_cvt_f32_u32 s1, s2
	s_sub_co_i32 s0, 0, s2
	s_ashr_i32 s3, s56, 31
	s_delay_alu instid0(VALU_DEP_1) | instskip(SKIP_1) | instid1(VALU_DEP_1)
	v_mov_b32_e32 v5, v7
	v_rcp_iflag_f32_e32 v1, s1
	v_lshl_add_u64 v[8:9], v[4:5], 2, s[14:15]
	s_delay_alu instid0(TRANS32_DEP_1) | instskip(SKIP_1) | instid1(SALU_CYCLE_3)
	v_readfirstlane_b32 s1, v1
	s_mul_f32 s1, s1, 0x4f7ffffe
	s_cvt_u32_f32 s6, s1
	s_mov_b32 s1, 0
	s_delay_alu instid0(SALU_CYCLE_2) | instskip(NEXT) | instid1(SALU_CYCLE_1)
	s_mul_i32 s0, s0, s6
	s_mul_hi_u32 s0, s6, s0
	s_delay_alu instid0(SALU_CYCLE_1)
	s_add_co_i32 s0, s6, s0
	s_mov_b32 s6, s1
.LBB0_282:                              ; =>This Inner Loop Header: Depth=1
	v_add_nc_u32_e32 v1, 1, v4
	v_not_b32_e32 v5, v4
	v_add_nc_u32_e32 v4, 0x100, v4
	s_delay_alu instid0(VALU_DEP_2) | instskip(NEXT) | instid1(VALU_DEP_1)
	v_max_i32_e32 v6, v1, v5
	v_mul_u64_e32 v[12:13], s[0:1], v[6:7]
	s_delay_alu instid0(VALU_DEP_1) | instskip(SKIP_1) | instid1(VALU_DEP_2)
	v_mul_lo_u32 v5, v13, s2
	v_add_nc_u32_e32 v12, 1, v13
	v_sub_nc_u32_e32 v5, v6, v5
	s_delay_alu instid0(VALU_DEP_1) | instskip(NEXT) | instid1(VALU_DEP_3)
	v_cmp_le_u32_e32 vcc_lo, s2, v5
	v_cndmask_b32_e32 v12, v13, v12, vcc_lo
	v_subrev_nc_u32_e32 v6, s2, v5
	s_delay_alu instid0(VALU_DEP_1) | instskip(NEXT) | instid1(VALU_DEP_1)
	v_dual_ashrrev_i32 v13, 31, v1 :: v_dual_cndmask_b32 v5, v5, v6, vcc_lo
	v_dual_add_nc_u32 v6, 1, v12 :: v_dual_bitop2_b32 v13, s3, v13 bitop3:0x14
	s_delay_alu instid0(VALU_DEP_2) | instskip(NEXT) | instid1(VALU_DEP_2)
	v_cmp_le_u32_e32 vcc_lo, s2, v5
	v_cndmask_b32_e32 v5, v12, v6, vcc_lo
	s_delay_alu instid0(VALU_DEP_1) | instskip(NEXT) | instid1(VALU_DEP_1)
	v_xor_b32_e32 v5, v5, v13
	v_sub_nc_u32_e32 v5, v5, v13
	s_delay_alu instid0(VALU_DEP_1) | instskip(NEXT) | instid1(VALU_DEP_1)
	v_mul_lo_u32 v6, v5, s56
	v_dual_add_nc_u32 v5, v10, v5 :: v_dual_sub_nc_u32 v1, v1, v6
	s_delay_alu instid0(VALU_DEP_1) | instskip(SKIP_1) | instid1(VALU_DEP_3)
	v_cmp_eq_u32_e32 vcc_lo, 0, v1
	v_cndmask_b32_e64 v1, v1, s56, vcc_lo
	v_subrev_co_ci_u32_e64 v5, null, 0, v5, vcc_lo
	v_cmp_le_i32_e32 vcc_lo, s58, v4
	s_delay_alu instid0(VALU_DEP_3) | instskip(SKIP_1) | instid1(VALU_DEP_1)
	v_add_nc_u32_e32 v1, v11, v1
	s_or_b32 s6, vcc_lo, s6
	v_mad_u32 v1, v5, s62, v1
	global_load_b32 v12, v[8:9], off
	global_load_b32 v13, v1, s[12:13] scale_offset
	s_wait_loadcnt 0x0
	v_pk_mul_f32 v[12:13], v[2:3], v[12:13]
	s_wait_xcnt 0x0
	s_delay_alu instid0(VALU_DEP_1)
	v_add_f32_e32 v1, v12, v13
	global_store_b32 v[8:9], v1, off
	s_wait_xcnt 0x0
	v_add_nc_u64_e32 v[8:9], 0x400, v[8:9]
	s_and_not1_b32 exec_lo, exec_lo, s6
	s_cbranch_execnz .LBB0_282
.LBB0_283:
	s_or_b32 exec_lo, exec_lo, s4
	s_wait_storecnt 0x0
	s_barrier_signal -1
	s_mov_b32 s2, -1
	s_barrier_wait -1
	s_and_b32 vcc_lo, exec_lo, s5
	s_cbranch_vccz .LBB0_271
.LBB0_284:
	s_mov_b32 s0, exec_lo
	v_cmpx_eq_u32_e32 0, v0
	s_cbranch_execz .LBB0_286
; %bb.285:
	v_mov_b32_e32 v1, s84
	s_mul_i32 s1, s84, s61
	s_clause 0x1
	global_load_b32 v2, v1, s[34:35] scale_offset
	global_load_b32 v3, v1, s[86:87] scale_offset
	s_wait_xcnt 0x0
	v_mov_b32_e32 v1, s1
	s_wait_loadcnt 0x1
	global_store_b32 v1, v2, s[88:89] scale_offset
	s_wait_loadcnt 0x0
	global_store_b32 v1, v3, s[90:91] scale_offset
.LBB0_286:
	s_wait_xcnt 0x0
	s_or_b32 exec_lo, exec_lo, s0
	s_delay_alu instid0(SALU_CYCLE_1)
	s_mov_b32 s4, exec_lo
	v_cmpx_gt_i32_e64 s58, v0
	s_cbranch_execz .LBB0_294
; %bb.287:
	v_mov_b32_e32 v1, s84
	s_mov_b32 s0, -1
	s_mov_b32 s1, exec_lo
	s_clause 0x1
	global_load_b32 v2, v1, s[86:87] scale_offset
	global_load_b32 v3, v1, s[34:35] scale_offset
	s_wait_xcnt 0x0
	v_xad_u32 v1, v0, -1, s58
	s_wait_loadcnt 0x1
	v_subrev_nc_u32_e32 v6, 26, v2
	s_wait_loadcnt 0x0
	v_subrev_nc_u32_e32 v7, 26, v3
	v_cmpx_lt_u32_e32 0xff, v1
	s_cbranch_execz .LBB0_291
; %bb.288:
	s_abs_i32 s5, s56
	s_delay_alu instid0(VALU_DEP_2) | instskip(SKIP_2) | instid1(VALU_DEP_1)
	v_dual_lshrrev_b32 v1, 8, v1 :: v_dual_add_nc_u32 v10, -1, v7
	s_cvt_f32_u32 s0, s5
	s_sub_co_i32 s2, 0, s5
	v_dual_mov_b32 v3, 0 :: v_dual_add_nc_u32 v8, 1, v1
	s_delay_alu instid0(SALU_CYCLE_1)
	v_rcp_iflag_f32_e32 v2, s0
	v_add_nc_u32_e32 v1, 0x100, v0
	s_mov_b32 s3, 0
	s_mov_b32 s6, s56
	v_and_b32_e32 v9, 0x1fffffe, v8
	s_mov_b32 s7, s62
	v_mov_b64_e32 v[4:5], v[0:1]
	v_readfirstlane_b32 s0, v2
	s_mov_b32 s8, s62
	v_mov_b32_e32 v1, v9
	s_ashr_i32 s9, s56, 31
	s_mov_b32 s10, s3
	s_mul_f32 s0, s0, 0x4f7ffffe
	s_delay_alu instid0(SALU_CYCLE_3) | instskip(NEXT) | instid1(SALU_CYCLE_3)
	s_cvt_u32_f32 s0, s0
	s_mul_i32 s2, s2, s0
	s_delay_alu instid0(SALU_CYCLE_1) | instskip(NEXT) | instid1(SALU_CYCLE_1)
	s_mul_hi_u32 s2, s0, s2
	s_add_co_i32 s2, s0, s2
.LBB0_289:                              ; =>This Inner Loop Header: Depth=1
	v_dual_add_nc_u32 v11, 1, v4 :: v_dual_add_nc_u32 v16, 1, v5
	v_not_b32_e32 v2, v4
	v_not_b32_e32 v14, v5
	v_add_nc_u32_e32 v5, 0x200, v5
	v_add_nc_u32_e32 v4, 0x200, v4
	s_delay_alu instid0(VALU_DEP_4) | instskip(NEXT) | instid1(VALU_DEP_1)
	v_dual_add_nc_u32 v1, -2, v1 :: v_dual_max_i32 v2, v11, v2
	v_mul_u64_e32 v[12:13], s[2:3], v[2:3]
	s_delay_alu instid0(VALU_DEP_1) | instskip(NEXT) | instid1(VALU_DEP_1)
	v_mul_lo_u32 v12, v13, s5
	v_dual_sub_nc_u32 v12, v2, v12 :: v_dual_max_i32 v2, v16, v14
	s_delay_alu instid0(VALU_DEP_1) | instskip(NEXT) | instid1(VALU_DEP_2)
	v_cmp_le_u32_e32 vcc_lo, s5, v12
	v_mul_u64_e32 v[14:15], s[2:3], v[2:3]
	v_dual_ashrrev_i32 v14, 31, v11 :: v_dual_ashrrev_i32 v17, 31, v16
	s_delay_alu instid0(VALU_DEP_1) | instskip(NEXT) | instid1(VALU_DEP_3)
	v_xor_b32_e32 v14, s9, v14
	v_mul_lo_u32 v18, v15, s5
	s_delay_alu instid0(VALU_DEP_1) | instskip(SKIP_1) | instid1(VALU_DEP_2)
	v_dual_add_nc_u32 v19, 1, v13 :: v_dual_sub_nc_u32 v2, v2, v18
	v_subrev_nc_u32_e32 v18, s5, v12
	v_dual_cndmask_b32 v13, v13, v19, vcc_lo :: v_dual_bitop2_b32 v17, s9, v17 bitop3:0x14
	v_add_nc_u32_e32 v19, 1, v15
	s_delay_alu instid0(VALU_DEP_4) | instskip(SKIP_1) | instid1(VALU_DEP_4)
	v_subrev_nc_u32_e32 v20, s5, v2
	v_cmp_le_u32_e64 s0, s5, v2
	v_dual_cndmask_b32 v12, v12, v18, vcc_lo :: v_dual_add_nc_u32 v18, 1, v13
	s_delay_alu instid0(VALU_DEP_2) | instskip(NEXT) | instid1(VALU_DEP_2)
	v_dual_cndmask_b32 v15, v15, v19, s0 :: v_dual_cndmask_b32 v2, v2, v20, s0
	v_cmp_le_u32_e32 vcc_lo, s5, v12
	s_delay_alu instid0(VALU_DEP_2) | instskip(NEXT) | instid1(VALU_DEP_3)
	v_dual_cndmask_b32 v12, v13, v18 :: v_dual_add_nc_u32 v19, 1, v15
	v_cmp_le_u32_e32 vcc_lo, s5, v2
	s_delay_alu instid0(VALU_DEP_2) | instskip(NEXT) | instid1(VALU_DEP_1)
	v_cndmask_b32_e32 v2, v15, v19, vcc_lo
	v_xor_b32_e32 v2, v2, v17
	s_delay_alu instid0(VALU_DEP_1) | instskip(NEXT) | instid1(VALU_DEP_1)
	v_dual_sub_nc_u32 v15, v2, v17 :: v_dual_bitop2_b32 v12, v12, v14 bitop3:0x14
	v_sub_nc_u32_e32 v13, v12, v14
	s_delay_alu instid0(VALU_DEP_2) | instskip(NEXT) | instid1(VALU_DEP_2)
	v_mul_lo_u32 v15, v15, s6
	v_mul_lo_u32 v13, v13, s56
	s_delay_alu instid0(VALU_DEP_1) | instskip(NEXT) | instid1(VALU_DEP_1)
	v_dual_sub_nc_u32 v11, v11, v13 :: v_dual_sub_nc_u32 v13, v16, v15
	v_cmp_eq_u32_e32 vcc_lo, 0, v11
	s_delay_alu instid0(VALU_DEP_2) | instskip(SKIP_2) | instid1(VALU_DEP_3)
	v_cmp_eq_u32_e64 s0, 0, v13
	v_sub_co_ci_u32_e64 v12, null, v12, v14, vcc_lo
	v_cndmask_b32_e64 v11, v11, s56, vcc_lo
	v_sub_co_ci_u32_e64 v2, null, v2, v17, s0
	v_cndmask_b32_e64 v13, v13, s6, s0
	s_delay_alu instid0(VALU_DEP_3) | instskip(NEXT) | instid1(VALU_DEP_3)
	v_dual_add_nc_u32 v14, v6, v12 :: v_dual_add_nc_u32 v15, v11, v10
	v_add_nc_u32_e32 v16, v6, v2
	v_mul_lo_u32 v12, v12, s56
	s_delay_alu instid0(VALU_DEP_4) | instskip(SKIP_3) | instid1(VALU_DEP_4)
	v_add_nc_u32_e32 v17, v13, v10
	v_mul_lo_u32 v2, v2, s6
	v_mad_u32 v14, v14, s7, v15
	v_cmp_eq_u32_e32 vcc_lo, 0, v1
	v_mad_u32 v15, v16, s8, v17
	s_clause 0x1
	global_load_b32 v16, v14, s[12:13] scale_offset
	global_load_b32 v17, v15, s[12:13] scale_offset
	v_add3_u32 v11, v11, v12, -1
	v_add3_u32 v2, v13, v2, -1
	s_or_b32 s10, vcc_lo, s10
	s_wait_loadcnt 0x1
	global_store_b32 v11, v16, s[14:15] scale_offset
	s_wait_loadcnt 0x0
	global_store_b32 v2, v17, s[14:15] scale_offset
	s_wait_xcnt 0x0
	s_and_not1_b32 exec_lo, exec_lo, s10
	s_cbranch_execnz .LBB0_289
; %bb.290:
	s_or_b32 exec_lo, exec_lo, s10
	v_cmp_ne_u32_e32 vcc_lo, v8, v9
	v_lshl_add_u32 v0, v9, 8, v0
	s_or_not1_b32 s0, vcc_lo, exec_lo
.LBB0_291:
	s_or_b32 exec_lo, exec_lo, s1
	s_delay_alu instid0(SALU_CYCLE_1)
	s_and_b32 exec_lo, exec_lo, s0
	s_cbranch_execz .LBB0_294
; %bb.292:
	s_abs_i32 s2, s56
	s_ashr_i32 s3, s56, 31
	s_cvt_f32_u32 s0, s2
	s_sub_co_i32 s1, 0, s2
	v_mov_b32_e32 v3, 0
	s_delay_alu instid0(SALU_CYCLE_1) | instskip(SKIP_1) | instid1(TRANS32_DEP_1)
	v_rcp_iflag_f32_e32 v1, s0
	v_nop
	v_readfirstlane_b32 s0, v1
	v_add_nc_u32_e32 v1, -1, v7
	s_mul_f32 s0, s0, 0x4f7ffffe
	s_delay_alu instid0(SALU_CYCLE_3) | instskip(NEXT) | instid1(SALU_CYCLE_3)
	s_cvt_u32_f32 s0, s0
	s_mul_i32 s1, s1, s0
	s_delay_alu instid0(SALU_CYCLE_1)
	s_mul_hi_u32 s5, s0, s1
	s_mov_b32 s1, 0
	s_add_co_i32 s0, s0, s5
	s_mov_b32 s5, s1
.LBB0_293:                              ; =>This Inner Loop Header: Depth=1
	v_add_nc_u32_e32 v7, 1, v0
	v_not_b32_e32 v2, v0
	v_add_nc_u32_e32 v0, 0x100, v0
	s_delay_alu instid0(VALU_DEP_2) | instskip(NEXT) | instid1(VALU_DEP_1)
	v_max_i32_e32 v2, v7, v2
	v_mul_u64_e32 v[4:5], s[0:1], v[2:3]
	s_delay_alu instid0(VALU_DEP_1) | instskip(NEXT) | instid1(VALU_DEP_1)
	v_mul_lo_u32 v4, v5, s2
	v_dual_add_nc_u32 v8, 1, v5 :: v_dual_sub_nc_u32 v2, v2, v4
	s_delay_alu instid0(VALU_DEP_1) | instskip(NEXT) | instid1(VALU_DEP_2)
	v_cmp_le_u32_e32 vcc_lo, s2, v2
	v_dual_cndmask_b32 v5, v5, v8 :: v_dual_ashrrev_i32 v8, 31, v7
	v_subrev_nc_u32_e32 v4, s2, v2
	s_delay_alu instid0(VALU_DEP_2) | instskip(NEXT) | instid1(VALU_DEP_2)
	v_xor_b32_e32 v8, s3, v8
	v_dual_cndmask_b32 v2, v2, v4, vcc_lo :: v_dual_add_nc_u32 v4, 1, v5
	s_delay_alu instid0(VALU_DEP_1) | instskip(NEXT) | instid1(VALU_DEP_2)
	v_cmp_le_u32_e32 vcc_lo, s2, v2
	v_cndmask_b32_e32 v2, v5, v4, vcc_lo
	s_delay_alu instid0(VALU_DEP_1) | instskip(NEXT) | instid1(VALU_DEP_1)
	v_xor_b32_e32 v2, v2, v8
	v_sub_nc_u32_e32 v4, v2, v8
	s_delay_alu instid0(VALU_DEP_1) | instskip(NEXT) | instid1(VALU_DEP_1)
	v_mul_lo_u32 v4, v4, s56
	v_sub_nc_u32_e32 v4, v7, v4
	s_delay_alu instid0(VALU_DEP_1) | instskip(SKIP_1) | instid1(VALU_DEP_1)
	v_cmp_eq_u32_e32 vcc_lo, 0, v4
	v_cndmask_b32_e64 v4, v4, s56, vcc_lo
	v_add_nc_u32_e32 v7, v4, v1
	v_sub_co_ci_u32_e64 v2, null, v2, v8, vcc_lo
	v_cmp_le_i32_e32 vcc_lo, s58, v0
	s_delay_alu instid0(VALU_DEP_2) | instskip(SKIP_2) | instid1(VALU_DEP_2)
	v_add_nc_u32_e32 v5, v6, v2
	v_mul_lo_u32 v8, v2, s56
	s_or_b32 s5, vcc_lo, s5
	v_mad_u32 v5, v5, s62, v7
	s_delay_alu instid0(VALU_DEP_2) | instskip(SKIP_3) | instid1(VALU_DEP_1)
	v_ashrrev_i32_e32 v9, 31, v8
	global_load_b32 v7, v5, s[12:13] scale_offset
	s_wait_xcnt 0x0
	v_ashrrev_i32_e32 v5, 31, v4
	v_add_nc_u64_e32 v[4:5], v[8:9], v[4:5]
	s_delay_alu instid0(VALU_DEP_1)
	v_lshl_add_u64 v[4:5], v[4:5], 2, s[14:15]
	s_wait_loadcnt 0x0
	global_store_b32 v[4:5], v7, off offset:-4
	s_wait_xcnt 0x0
	s_and_not1_b32 exec_lo, exec_lo, s5
	s_cbranch_execnz .LBB0_293
.LBB0_294:
	s_or_b32 exec_lo, exec_lo, s4
	s_wait_storecnt 0x0
	s_barrier_signal -1
	s_barrier_wait -1
	s_cbranch_execz .LBB0_272
.LBB0_295:
	s_endpgm
	.section	.rodata,"a",@progbits
	.p2align	6, 0x0
	.amdhsa_kernel _Z2hwi13params_commonPKfPiS2_S2_S2_S2_S2_S2_S2_PfS3_S3_S3_S3_S3_S3_S3_S3_S3_S3_S3_S3_S3_S3_S3_S3_S3_S3_S3_S3_S3_
		.amdhsa_group_segment_fixed_size 0
		.amdhsa_private_segment_fixed_size 0
		.amdhsa_kernarg_size 640
		.amdhsa_user_sgpr_count 2
		.amdhsa_user_sgpr_dispatch_ptr 0
		.amdhsa_user_sgpr_queue_ptr 0
		.amdhsa_user_sgpr_kernarg_segment_ptr 1
		.amdhsa_user_sgpr_dispatch_id 0
		.amdhsa_user_sgpr_kernarg_preload_length 0
		.amdhsa_user_sgpr_kernarg_preload_offset 0
		.amdhsa_user_sgpr_private_segment_size 0
		.amdhsa_wavefront_size32 1
		.amdhsa_uses_dynamic_stack 0
		.amdhsa_enable_private_segment 0
		.amdhsa_system_sgpr_workgroup_id_x 1
		.amdhsa_system_sgpr_workgroup_id_y 0
		.amdhsa_system_sgpr_workgroup_id_z 0
		.amdhsa_system_sgpr_workgroup_info 0
		.amdhsa_system_vgpr_workitem_id 0
		.amdhsa_next_free_vgpr 35
		.amdhsa_next_free_sgpr 105
		.amdhsa_named_barrier_count 0
		.amdhsa_reserve_vcc 1
		.amdhsa_float_round_mode_32 0
		.amdhsa_float_round_mode_16_64 0
		.amdhsa_float_denorm_mode_32 3
		.amdhsa_float_denorm_mode_16_64 3
		.amdhsa_fp16_overflow 0
		.amdhsa_memory_ordered 1
		.amdhsa_forward_progress 1
		.amdhsa_inst_pref_size 205
		.amdhsa_round_robin_scheduling 0
		.amdhsa_exception_fp_ieee_invalid_op 0
		.amdhsa_exception_fp_denorm_src 0
		.amdhsa_exception_fp_ieee_div_zero 0
		.amdhsa_exception_fp_ieee_overflow 0
		.amdhsa_exception_fp_ieee_underflow 0
		.amdhsa_exception_fp_ieee_inexact 0
		.amdhsa_exception_int_div_zero 0
	.end_amdhsa_kernel
	.text
.Lfunc_end0:
	.size	_Z2hwi13params_commonPKfPiS2_S2_S2_S2_S2_S2_S2_PfS3_S3_S3_S3_S3_S3_S3_S3_S3_S3_S3_S3_S3_S3_S3_S3_S3_S3_S3_S3_S3_, .Lfunc_end0-_Z2hwi13params_commonPKfPiS2_S2_S2_S2_S2_S2_S2_PfS3_S3_S3_S3_S3_S3_S3_S3_S3_S3_S3_S3_S3_S3_S3_S3_S3_S3_S3_S3_S3_
                                        ; -- End function
	.set _Z2hwi13params_commonPKfPiS2_S2_S2_S2_S2_S2_S2_PfS3_S3_S3_S3_S3_S3_S3_S3_S3_S3_S3_S3_S3_S3_S3_S3_S3_S3_S3_S3_S3_.num_vgpr, 35
	.set _Z2hwi13params_commonPKfPiS2_S2_S2_S2_S2_S2_S2_PfS3_S3_S3_S3_S3_S3_S3_S3_S3_S3_S3_S3_S3_S3_S3_S3_S3_S3_S3_S3_S3_.num_agpr, 0
	.set _Z2hwi13params_commonPKfPiS2_S2_S2_S2_S2_S2_S2_PfS3_S3_S3_S3_S3_S3_S3_S3_S3_S3_S3_S3_S3_S3_S3_S3_S3_S3_S3_S3_S3_.numbered_sgpr, 105
	.set _Z2hwi13params_commonPKfPiS2_S2_S2_S2_S2_S2_S2_PfS3_S3_S3_S3_S3_S3_S3_S3_S3_S3_S3_S3_S3_S3_S3_S3_S3_S3_S3_S3_S3_.num_named_barrier, 0
	.set _Z2hwi13params_commonPKfPiS2_S2_S2_S2_S2_S2_S2_PfS3_S3_S3_S3_S3_S3_S3_S3_S3_S3_S3_S3_S3_S3_S3_S3_S3_S3_S3_S3_S3_.private_seg_size, 0
	.set _Z2hwi13params_commonPKfPiS2_S2_S2_S2_S2_S2_S2_PfS3_S3_S3_S3_S3_S3_S3_S3_S3_S3_S3_S3_S3_S3_S3_S3_S3_S3_S3_S3_S3_.uses_vcc, 1
	.set _Z2hwi13params_commonPKfPiS2_S2_S2_S2_S2_S2_S2_PfS3_S3_S3_S3_S3_S3_S3_S3_S3_S3_S3_S3_S3_S3_S3_S3_S3_S3_S3_S3_S3_.uses_flat_scratch, 0
	.set _Z2hwi13params_commonPKfPiS2_S2_S2_S2_S2_S2_S2_PfS3_S3_S3_S3_S3_S3_S3_S3_S3_S3_S3_S3_S3_S3_S3_S3_S3_S3_S3_S3_S3_.has_dyn_sized_stack, 0
	.set _Z2hwi13params_commonPKfPiS2_S2_S2_S2_S2_S2_S2_PfS3_S3_S3_S3_S3_S3_S3_S3_S3_S3_S3_S3_S3_S3_S3_S3_S3_S3_S3_S3_S3_.has_recursion, 0
	.set _Z2hwi13params_commonPKfPiS2_S2_S2_S2_S2_S2_S2_PfS3_S3_S3_S3_S3_S3_S3_S3_S3_S3_S3_S3_S3_S3_S3_S3_S3_S3_S3_S3_S3_.has_indirect_call, 0
	.section	.AMDGPU.csdata,"",@progbits
; Kernel info:
; codeLenInByte = 26144
; TotalNumSgprs: 107
; NumVgprs: 35
; ScratchSize: 0
; MemoryBound: 0
; FloatMode: 240
; IeeeMode: 1
; LDSByteSize: 0 bytes/workgroup (compile time only)
; SGPRBlocks: 0
; VGPRBlocks: 2
; NumSGPRsForWavesPerEU: 107
; NumVGPRsForWavesPerEU: 35
; NamedBarCnt: 0
; Occupancy: 16
; WaveLimiterHint : 1
; COMPUTE_PGM_RSRC2:SCRATCH_EN: 0
; COMPUTE_PGM_RSRC2:USER_SGPR: 2
; COMPUTE_PGM_RSRC2:TRAP_HANDLER: 0
; COMPUTE_PGM_RSRC2:TGID_X_EN: 1
; COMPUTE_PGM_RSRC2:TGID_Y_EN: 0
; COMPUTE_PGM_RSRC2:TGID_Z_EN: 0
; COMPUTE_PGM_RSRC2:TIDIG_COMP_CNT: 0
	.text
	.p2alignl 7, 3214868480
	.fill 96, 4, 3214868480
	.section	.AMDGPU.gpr_maximums,"",@progbits
	.set amdgpu.max_num_vgpr, 0
	.set amdgpu.max_num_agpr, 0
	.set amdgpu.max_num_sgpr, 0
	.text
	.type	__hip_cuid_aa3831af91874181,@object ; @__hip_cuid_aa3831af91874181
	.section	.bss,"aw",@nobits
	.globl	__hip_cuid_aa3831af91874181
__hip_cuid_aa3831af91874181:
	.byte	0                               ; 0x0
	.size	__hip_cuid_aa3831af91874181, 1

	.ident	"AMD clang version 22.0.0git (https://github.com/RadeonOpenCompute/llvm-project roc-7.2.4 26084 f58b06dce1f9c15707c5f808fd002e18c2accf7e)"
	.section	".note.GNU-stack","",@progbits
	.addrsig
	.addrsig_sym __hip_cuid_aa3831af91874181
	.amdgpu_metadata
---
amdhsa.kernels:
  - .args:
      - .offset:         0
        .size:           4
        .value_kind:     by_value
      - .offset:         4
        .size:           388
        .value_kind:     by_value
      - .actual_access:  read_only
        .address_space:  global
        .offset:         392
        .size:           8
        .value_kind:     global_buffer
      - .address_space:  global
        .offset:         400
        .size:           8
        .value_kind:     global_buffer
      - .address_space:  global
        .offset:         408
        .size:           8
        .value_kind:     global_buffer
      - .address_space:  global
        .offset:         416
        .size:           8
        .value_kind:     global_buffer
      - .address_space:  global
        .offset:         424
        .size:           8
        .value_kind:     global_buffer
      - .address_space:  global
        .offset:         432
        .size:           8
        .value_kind:     global_buffer
      - .address_space:  global
        .offset:         440
        .size:           8
        .value_kind:     global_buffer
      - .address_space:  global
        .offset:         448
        .size:           8
        .value_kind:     global_buffer
      - .address_space:  global
        .offset:         456
        .size:           8
        .value_kind:     global_buffer
      - .address_space:  global
        .offset:         464
        .size:           8
        .value_kind:     global_buffer
      - .address_space:  global
        .offset:         472
        .size:           8
        .value_kind:     global_buffer
      - .address_space:  global
        .offset:         480
        .size:           8
        .value_kind:     global_buffer
      - .address_space:  global
        .offset:         488
        .size:           8
        .value_kind:     global_buffer
      - .address_space:  global
        .offset:         496
        .size:           8
        .value_kind:     global_buffer
      - .address_space:  global
        .offset:         504
        .size:           8
        .value_kind:     global_buffer
      - .address_space:  global
        .offset:         512
        .size:           8
        .value_kind:     global_buffer
      - .address_space:  global
        .offset:         520
        .size:           8
        .value_kind:     global_buffer
      - .address_space:  global
        .offset:         528
        .size:           8
        .value_kind:     global_buffer
      - .address_space:  global
        .offset:         536
        .size:           8
        .value_kind:     global_buffer
      - .address_space:  global
        .offset:         544
        .size:           8
        .value_kind:     global_buffer
      - .address_space:  global
        .offset:         552
        .size:           8
        .value_kind:     global_buffer
      - .address_space:  global
        .offset:         560
        .size:           8
        .value_kind:     global_buffer
      - .address_space:  global
        .offset:         568
        .size:           8
        .value_kind:     global_buffer
      - .address_space:  global
        .offset:         576
        .size:           8
        .value_kind:     global_buffer
      - .address_space:  global
        .offset:         584
        .size:           8
        .value_kind:     global_buffer
      - .address_space:  global
        .offset:         592
        .size:           8
        .value_kind:     global_buffer
      - .address_space:  global
        .offset:         600
        .size:           8
        .value_kind:     global_buffer
      - .address_space:  global
        .offset:         608
        .size:           8
        .value_kind:     global_buffer
      - .address_space:  global
        .offset:         616
        .size:           8
        .value_kind:     global_buffer
      - .address_space:  global
        .offset:         624
        .size:           8
        .value_kind:     global_buffer
      - .address_space:  global
        .offset:         632
        .size:           8
        .value_kind:     global_buffer
    .group_segment_fixed_size: 0
    .kernarg_segment_align: 8
    .kernarg_segment_size: 640
    .language:       OpenCL C
    .language_version:
      - 2
      - 0
    .max_flat_workgroup_size: 1024
    .name:           _Z2hwi13params_commonPKfPiS2_S2_S2_S2_S2_S2_S2_PfS3_S3_S3_S3_S3_S3_S3_S3_S3_S3_S3_S3_S3_S3_S3_S3_S3_S3_S3_S3_S3_
    .private_segment_fixed_size: 0
    .sgpr_count:     107
    .sgpr_spill_count: 22
    .symbol:         _Z2hwi13params_commonPKfPiS2_S2_S2_S2_S2_S2_S2_PfS3_S3_S3_S3_S3_S3_S3_S3_S3_S3_S3_S3_S3_S3_S3_S3_S3_S3_S3_S3_S3_.kd
    .uniform_work_group_size: 1
    .uses_dynamic_stack: false
    .vgpr_count:     35
    .vgpr_spill_count: 0
    .wavefront_size: 32
amdhsa.target:   amdgcn-amd-amdhsa--gfx1250
amdhsa.version:
  - 1
  - 2
...

	.end_amdgpu_metadata
